;; amdgpu-corpus repo=ROCm/rocFFT kind=compiled arch=gfx1201 opt=O3
	.text
	.amdgcn_target "amdgcn-amd-amdhsa--gfx1201"
	.amdhsa_code_object_version 6
	.protected	fft_rtc_fwd_len936_factors_2_2_13_2_3_3_wgs_234_tpt_78_halfLds_sp_ip_CI_unitstride_sbrr_dirReg ; -- Begin function fft_rtc_fwd_len936_factors_2_2_13_2_3_3_wgs_234_tpt_78_halfLds_sp_ip_CI_unitstride_sbrr_dirReg
	.globl	fft_rtc_fwd_len936_factors_2_2_13_2_3_3_wgs_234_tpt_78_halfLds_sp_ip_CI_unitstride_sbrr_dirReg
	.p2align	8
	.type	fft_rtc_fwd_len936_factors_2_2_13_2_3_3_wgs_234_tpt_78_halfLds_sp_ip_CI_unitstride_sbrr_dirReg,@function
fft_rtc_fwd_len936_factors_2_2_13_2_3_3_wgs_234_tpt_78_halfLds_sp_ip_CI_unitstride_sbrr_dirReg: ; @fft_rtc_fwd_len936_factors_2_2_13_2_3_3_wgs_234_tpt_78_halfLds_sp_ip_CI_unitstride_sbrr_dirReg
; %bb.0:
	s_load_b128 s[4:7], s[0:1], 0x0
	v_mul_u32_u24_e32 v1, 0x349, v0
	s_clause 0x1
	s_load_b64 s[8:9], s[0:1], 0x50
	s_load_b64 s[10:11], s[0:1], 0x18
	v_mov_b32_e32 v6, 0
	v_lshrrev_b32_e32 v1, 16, v1
	s_delay_alu instid0(VALU_DEP_1) | instskip(SKIP_1) | instid1(VALU_DEP_4)
	v_mad_co_u64_u32 v[4:5], null, ttmp9, 3, v[1:2]
	v_mov_b32_e32 v1, 0
	v_dual_mov_b32 v5, v6 :: v_dual_mov_b32 v2, 0
	s_delay_alu instid0(VALU_DEP_1) | instskip(SKIP_2) | instid1(VALU_DEP_1)
	v_dual_mov_b32 v14, v5 :: v_dual_mov_b32 v13, v4
	s_wait_kmcnt 0x0
	v_cmp_lt_u64_e64 s2, s[6:7], 2
	s_and_b32 vcc_lo, exec_lo, s2
	s_cbranch_vccnz .LBB0_8
; %bb.1:
	s_load_b64 s[2:3], s[0:1], 0x10
	v_mov_b32_e32 v1, 0
	v_dual_mov_b32 v2, 0 :: v_dual_mov_b32 v9, v5
	v_mov_b32_e32 v8, v4
	s_add_nc_u64 s[12:13], s[10:11], 8
	s_mov_b64 s[14:15], 1
	s_wait_kmcnt 0x0
	s_add_nc_u64 s[16:17], s[2:3], 8
	s_mov_b32 s3, 0
.LBB0_2:                                ; =>This Inner Loop Header: Depth=1
	s_load_b64 s[18:19], s[16:17], 0x0
                                        ; implicit-def: $vgpr13_vgpr14
	s_mov_b32 s2, exec_lo
	s_wait_kmcnt 0x0
	v_or_b32_e32 v7, s19, v9
	s_delay_alu instid0(VALU_DEP_1)
	v_cmpx_ne_u64_e32 0, v[6:7]
	s_wait_alu 0xfffe
	s_xor_b32 s20, exec_lo, s2
	s_cbranch_execz .LBB0_4
; %bb.3:                                ;   in Loop: Header=BB0_2 Depth=1
	s_cvt_f32_u32 s2, s18
	s_cvt_f32_u32 s21, s19
	s_sub_nc_u64 s[24:25], 0, s[18:19]
	s_wait_alu 0xfffe
	s_delay_alu instid0(SALU_CYCLE_1) | instskip(SKIP_1) | instid1(SALU_CYCLE_2)
	s_fmamk_f32 s2, s21, 0x4f800000, s2
	s_wait_alu 0xfffe
	v_s_rcp_f32 s2, s2
	s_delay_alu instid0(TRANS32_DEP_1) | instskip(SKIP_1) | instid1(SALU_CYCLE_2)
	s_mul_f32 s2, s2, 0x5f7ffffc
	s_wait_alu 0xfffe
	s_mul_f32 s21, s2, 0x2f800000
	s_wait_alu 0xfffe
	s_delay_alu instid0(SALU_CYCLE_2) | instskip(SKIP_1) | instid1(SALU_CYCLE_2)
	s_trunc_f32 s21, s21
	s_wait_alu 0xfffe
	s_fmamk_f32 s2, s21, 0xcf800000, s2
	s_cvt_u32_f32 s23, s21
	s_wait_alu 0xfffe
	s_delay_alu instid0(SALU_CYCLE_1) | instskip(SKIP_1) | instid1(SALU_CYCLE_2)
	s_cvt_u32_f32 s22, s2
	s_wait_alu 0xfffe
	s_mul_u64 s[26:27], s[24:25], s[22:23]
	s_wait_alu 0xfffe
	s_mul_hi_u32 s29, s22, s27
	s_mul_i32 s28, s22, s27
	s_mul_hi_u32 s2, s22, s26
	s_mul_i32 s30, s23, s26
	s_wait_alu 0xfffe
	s_add_nc_u64 s[28:29], s[2:3], s[28:29]
	s_mul_hi_u32 s21, s23, s26
	s_mul_hi_u32 s31, s23, s27
	s_add_co_u32 s2, s28, s30
	s_wait_alu 0xfffe
	s_add_co_ci_u32 s2, s29, s21
	s_mul_i32 s26, s23, s27
	s_add_co_ci_u32 s27, s31, 0
	s_wait_alu 0xfffe
	s_add_nc_u64 s[26:27], s[2:3], s[26:27]
	s_wait_alu 0xfffe
	v_add_co_u32 v3, s2, s22, s26
	s_delay_alu instid0(VALU_DEP_1) | instskip(SKIP_1) | instid1(VALU_DEP_1)
	s_cmp_lg_u32 s2, 0
	s_add_co_ci_u32 s23, s23, s27
	v_readfirstlane_b32 s22, v3
	s_wait_alu 0xfffe
	s_delay_alu instid0(VALU_DEP_1)
	s_mul_u64 s[24:25], s[24:25], s[22:23]
	s_wait_alu 0xfffe
	s_mul_hi_u32 s27, s22, s25
	s_mul_i32 s26, s22, s25
	s_mul_hi_u32 s2, s22, s24
	s_mul_i32 s28, s23, s24
	s_wait_alu 0xfffe
	s_add_nc_u64 s[26:27], s[2:3], s[26:27]
	s_mul_hi_u32 s21, s23, s24
	s_mul_hi_u32 s22, s23, s25
	s_wait_alu 0xfffe
	s_add_co_u32 s2, s26, s28
	s_add_co_ci_u32 s2, s27, s21
	s_mul_i32 s24, s23, s25
	s_add_co_ci_u32 s25, s22, 0
	s_wait_alu 0xfffe
	s_add_nc_u64 s[24:25], s[2:3], s[24:25]
	s_wait_alu 0xfffe
	v_add_co_u32 v3, s2, v3, s24
	s_delay_alu instid0(VALU_DEP_1) | instskip(SKIP_1) | instid1(VALU_DEP_1)
	s_cmp_lg_u32 s2, 0
	s_add_co_ci_u32 s2, s23, s25
	v_mul_hi_u32 v5, v8, v3
	s_wait_alu 0xfffe
	v_mad_co_u64_u32 v[10:11], null, v8, s2, 0
	v_mad_co_u64_u32 v[12:13], null, v9, v3, 0
	;; [unrolled: 1-line block ×3, first 2 shown]
	s_delay_alu instid0(VALU_DEP_3) | instskip(SKIP_1) | instid1(VALU_DEP_4)
	v_add_co_u32 v3, vcc_lo, v5, v10
	s_wait_alu 0xfffd
	v_add_co_ci_u32_e32 v5, vcc_lo, 0, v11, vcc_lo
	s_delay_alu instid0(VALU_DEP_2) | instskip(SKIP_1) | instid1(VALU_DEP_2)
	v_add_co_u32 v3, vcc_lo, v3, v12
	s_wait_alu 0xfffd
	v_add_co_ci_u32_e32 v3, vcc_lo, v5, v13, vcc_lo
	s_wait_alu 0xfffd
	v_add_co_ci_u32_e32 v5, vcc_lo, 0, v15, vcc_lo
	s_delay_alu instid0(VALU_DEP_2) | instskip(SKIP_1) | instid1(VALU_DEP_2)
	v_add_co_u32 v3, vcc_lo, v3, v14
	s_wait_alu 0xfffd
	v_add_co_ci_u32_e32 v5, vcc_lo, 0, v5, vcc_lo
	s_delay_alu instid0(VALU_DEP_2) | instskip(SKIP_1) | instid1(VALU_DEP_3)
	v_mul_lo_u32 v7, s19, v3
	v_mad_co_u64_u32 v[10:11], null, s18, v3, 0
	v_mul_lo_u32 v12, s18, v5
	s_delay_alu instid0(VALU_DEP_2) | instskip(NEXT) | instid1(VALU_DEP_2)
	v_sub_co_u32 v10, vcc_lo, v8, v10
	v_add3_u32 v7, v11, v12, v7
	s_delay_alu instid0(VALU_DEP_1) | instskip(SKIP_1) | instid1(VALU_DEP_1)
	v_sub_nc_u32_e32 v11, v9, v7
	s_wait_alu 0xfffd
	v_subrev_co_ci_u32_e64 v11, s2, s19, v11, vcc_lo
	v_add_co_u32 v12, s2, v3, 2
	s_wait_alu 0xf1ff
	v_add_co_ci_u32_e64 v13, s2, 0, v5, s2
	v_sub_co_u32 v14, s2, v10, s18
	v_sub_co_ci_u32_e32 v7, vcc_lo, v9, v7, vcc_lo
	s_wait_alu 0xf1ff
	v_subrev_co_ci_u32_e64 v11, s2, 0, v11, s2
	s_delay_alu instid0(VALU_DEP_3) | instskip(NEXT) | instid1(VALU_DEP_3)
	v_cmp_le_u32_e32 vcc_lo, s18, v14
	v_cmp_eq_u32_e64 s2, s19, v7
	s_wait_alu 0xfffd
	v_cndmask_b32_e64 v14, 0, -1, vcc_lo
	v_cmp_le_u32_e32 vcc_lo, s19, v11
	s_wait_alu 0xfffd
	v_cndmask_b32_e64 v15, 0, -1, vcc_lo
	v_cmp_le_u32_e32 vcc_lo, s18, v10
	;; [unrolled: 3-line block ×3, first 2 shown]
	s_wait_alu 0xfffd
	v_cndmask_b32_e64 v16, 0, -1, vcc_lo
	v_cmp_eq_u32_e32 vcc_lo, s19, v11
	s_wait_alu 0xf1ff
	s_delay_alu instid0(VALU_DEP_2)
	v_cndmask_b32_e64 v7, v16, v10, s2
	s_wait_alu 0xfffd
	v_cndmask_b32_e32 v11, v15, v14, vcc_lo
	v_add_co_u32 v14, vcc_lo, v3, 1
	s_wait_alu 0xfffd
	v_add_co_ci_u32_e32 v15, vcc_lo, 0, v5, vcc_lo
	s_delay_alu instid0(VALU_DEP_3) | instskip(SKIP_1) | instid1(VALU_DEP_2)
	v_cmp_ne_u32_e32 vcc_lo, 0, v11
	s_wait_alu 0xfffd
	v_dual_cndmask_b32 v10, v15, v13 :: v_dual_cndmask_b32 v11, v14, v12
	v_cmp_ne_u32_e32 vcc_lo, 0, v7
	s_wait_alu 0xfffd
	s_delay_alu instid0(VALU_DEP_2)
	v_dual_cndmask_b32 v14, v5, v10 :: v_dual_cndmask_b32 v13, v3, v11
.LBB0_4:                                ;   in Loop: Header=BB0_2 Depth=1
	s_wait_alu 0xfffe
	s_and_not1_saveexec_b32 s2, s20
	s_cbranch_execz .LBB0_6
; %bb.5:                                ;   in Loop: Header=BB0_2 Depth=1
	v_cvt_f32_u32_e32 v3, s18
	s_sub_co_i32 s20, 0, s18
	v_mov_b32_e32 v14, v6
	s_delay_alu instid0(VALU_DEP_2) | instskip(NEXT) | instid1(TRANS32_DEP_1)
	v_rcp_iflag_f32_e32 v3, v3
	v_mul_f32_e32 v3, 0x4f7ffffe, v3
	s_delay_alu instid0(VALU_DEP_1) | instskip(SKIP_1) | instid1(VALU_DEP_1)
	v_cvt_u32_f32_e32 v3, v3
	s_wait_alu 0xfffe
	v_mul_lo_u32 v5, s20, v3
	s_delay_alu instid0(VALU_DEP_1) | instskip(NEXT) | instid1(VALU_DEP_1)
	v_mul_hi_u32 v5, v3, v5
	v_add_nc_u32_e32 v3, v3, v5
	s_delay_alu instid0(VALU_DEP_1) | instskip(NEXT) | instid1(VALU_DEP_1)
	v_mul_hi_u32 v3, v8, v3
	v_mul_lo_u32 v5, v3, s18
	v_add_nc_u32_e32 v7, 1, v3
	s_delay_alu instid0(VALU_DEP_2) | instskip(NEXT) | instid1(VALU_DEP_1)
	v_sub_nc_u32_e32 v5, v8, v5
	v_subrev_nc_u32_e32 v10, s18, v5
	v_cmp_le_u32_e32 vcc_lo, s18, v5
	s_wait_alu 0xfffd
	s_delay_alu instid0(VALU_DEP_2) | instskip(SKIP_1) | instid1(VALU_DEP_2)
	v_cndmask_b32_e32 v5, v5, v10, vcc_lo
	v_cndmask_b32_e32 v3, v3, v7, vcc_lo
	v_cmp_le_u32_e32 vcc_lo, s18, v5
	s_delay_alu instid0(VALU_DEP_2) | instskip(SKIP_1) | instid1(VALU_DEP_1)
	v_add_nc_u32_e32 v7, 1, v3
	s_wait_alu 0xfffd
	v_cndmask_b32_e32 v13, v3, v7, vcc_lo
.LBB0_6:                                ;   in Loop: Header=BB0_2 Depth=1
	s_wait_alu 0xfffe
	s_or_b32 exec_lo, exec_lo, s2
	s_load_b64 s[20:21], s[12:13], 0x0
	v_mul_lo_u32 v3, v14, s18
	v_mul_lo_u32 v5, v13, s19
	v_mad_co_u64_u32 v[10:11], null, v13, s18, 0
	s_add_nc_u64 s[14:15], s[14:15], 1
	s_add_nc_u64 s[12:13], s[12:13], 8
	s_wait_alu 0xfffe
	v_cmp_ge_u64_e64 s2, s[14:15], s[6:7]
	s_add_nc_u64 s[16:17], s[16:17], 8
	s_delay_alu instid0(VALU_DEP_2) | instskip(NEXT) | instid1(VALU_DEP_3)
	v_add3_u32 v3, v11, v5, v3
	v_sub_co_u32 v5, vcc_lo, v8, v10
	s_wait_alu 0xfffd
	s_delay_alu instid0(VALU_DEP_2) | instskip(SKIP_3) | instid1(VALU_DEP_2)
	v_sub_co_ci_u32_e32 v3, vcc_lo, v9, v3, vcc_lo
	s_and_b32 vcc_lo, exec_lo, s2
	s_wait_kmcnt 0x0
	v_mul_lo_u32 v7, s21, v5
	v_mul_lo_u32 v3, s20, v3
	v_mad_co_u64_u32 v[1:2], null, s20, v5, v[1:2]
	s_delay_alu instid0(VALU_DEP_1)
	v_add3_u32 v2, v7, v2, v3
	s_wait_alu 0xfffe
	s_cbranch_vccnz .LBB0_8
; %bb.7:                                ;   in Loop: Header=BB0_2 Depth=1
	v_dual_mov_b32 v8, v13 :: v_dual_mov_b32 v9, v14
	s_branch .LBB0_2
.LBB0_8:
	s_lshl_b64 s[2:3], s[6:7], 3
	v_mul_hi_u32 v3, 0x3483484, v0
	s_wait_alu 0xfffe
	s_add_nc_u64 s[2:3], s[10:11], s[2:3]
	v_mov_b32_e32 v5, 0
	s_load_b64 s[2:3], s[2:3], 0x0
	s_load_b64 s[0:1], s[0:1], 0x20
	v_mov_b32_e32 v6, 0
                                        ; implicit-def: $vgpr28
                                        ; implicit-def: $vgpr18
                                        ; implicit-def: $vgpr26
                                        ; implicit-def: $vgpr20
                                        ; implicit-def: $vgpr22
                                        ; implicit-def: $vgpr24
	s_delay_alu instid0(VALU_DEP_3) | instskip(NEXT) | instid1(VALU_DEP_2)
	v_mul_u32_u24_e32 v3, 0x4e, v3
	v_dual_mov_b32 v8, v6 :: v_dual_mov_b32 v7, v5
	v_dual_mov_b32 v12, v6 :: v_dual_mov_b32 v11, v5
	s_delay_alu instid0(VALU_DEP_3)
	v_sub_nc_u32_e32 v0, v0, v3
	v_dual_mov_b32 v16, v6 :: v_dual_mov_b32 v15, v5
	s_wait_kmcnt 0x0
	v_mul_lo_u32 v9, s2, v14
	v_mul_lo_u32 v10, s3, v13
	v_mad_co_u64_u32 v[1:2], null, s2, v13, v[1:2]
	v_cmp_gt_u64_e32 vcc_lo, s[0:1], v[13:14]
	v_dual_mov_b32 v14, v6 :: v_dual_mov_b32 v13, v5
	s_delay_alu instid0(VALU_DEP_3) | instskip(SKIP_1) | instid1(VALU_DEP_2)
	v_add3_u32 v2, v10, v2, v9
	v_dual_mov_b32 v10, v6 :: v_dual_mov_b32 v9, v5
	v_lshlrev_b64_e32 v[2:3], 3, v[1:2]
	s_and_saveexec_b32 s1, vcc_lo
; %bb.9:
	v_mov_b32_e32 v1, 0
	s_delay_alu instid0(VALU_DEP_1) | instskip(NEXT) | instid1(VALU_DEP_3)
	v_lshlrev_b64_e32 v[5:6], 3, v[0:1]
	v_add_co_u32 v1, s0, s8, v2
	s_wait_alu 0xf1ff
	v_add_co_ci_u32_e64 v7, s0, s9, v3, s0
	s_delay_alu instid0(VALU_DEP_2) | instskip(SKIP_1) | instid1(VALU_DEP_2)
	v_add_co_u32 v19, s0, v1, v5
	s_wait_alu 0xf1ff
	v_add_co_ci_u32_e64 v20, s0, v7, v6, s0
	s_clause 0xb
	global_load_b64 v[17:18], v[19:20], off offset:4368
	global_load_b64 v[5:6], v[19:20], off
	global_load_b64 v[7:8], v[19:20], off offset:624
	global_load_b64 v[9:10], v[19:20], off offset:1248
	global_load_b64 v[11:12], v[19:20], off offset:1872
	global_load_b64 v[13:14], v[19:20], off offset:2496
	global_load_b64 v[27:28], v[19:20], off offset:3744
	global_load_b64 v[15:16], v[19:20], off offset:3120
	global_load_b64 v[25:26], v[19:20], off offset:4992
	global_load_b64 v[23:24], v[19:20], off offset:5616
	global_load_b64 v[21:22], v[19:20], off offset:6240
	global_load_b64 v[19:20], v[19:20], off offset:6864
; %bb.10:
	s_wait_alu 0xfffe
	s_or_b32 exec_lo, exec_lo, s1
	v_mul_hi_u32 v1, 0xaaaaaaab, v4
	s_wait_loadcnt 0x5
	v_dual_sub_f32 v27, v5, v27 :: v_dual_sub_f32 v18, v8, v18
	s_wait_loadcnt 0x0
	v_dual_sub_f32 v31, v7, v17 :: v_dual_sub_f32 v50, v16, v20
	v_dual_sub_f32 v25, v9, v25 :: v_dual_add_nc_u32 v40, 0x9c, v0
	v_dual_sub_f32 v33, v10, v26 :: v_dual_add_nc_u32 v44, 0x138, v0
	v_lshrrev_b32_e32 v1, 1, v1
	v_sub_f32_e32 v39, v15, v19
	v_lshlrev_b32_e32 v19, 2, v0
	v_fma_f32 v26, v5, 2.0, -v27
	v_add_nc_u32_e32 v43, 0x4e, v0
	v_lshl_add_u32 v1, v1, 1, v1
	v_sub_f32_e32 v37, v14, v22
	v_fma_f32 v30, v7, 2.0, -v31
	v_sub_f32_e32 v21, v13, v21
	v_add_nc_u32_e32 v45, 0x186, v0
	v_sub_nc_u32_e32 v4, v4, v1
	v_add_nc_u32_e32 v1, 0xea, v0
	v_fma_f32 v36, v14, 2.0, -v37
	v_and_b32_e32 v14, 1, v0
	v_sub_f32_e32 v35, v12, v24
	v_mul_u32_u24_e32 v4, 0x3a8, v4
	v_fma_f32 v17, v8, 2.0, -v18
	v_fma_f32 v24, v9, 2.0, -v25
	;; [unrolled: 1-line block ×4, first 2 shown]
	v_lshlrev_b32_e32 v5, 2, v4
	v_fma_f32 v20, v13, 2.0, -v21
	v_fma_f32 v38, v15, 2.0, -v39
	;; [unrolled: 1-line block ×3, first 2 shown]
	v_cmp_gt_u32_e64 s0, 0x48, v0
	v_add_nc_u32_e32 v7, 0, v5
	v_sub_f32_e32 v29, v6, v28
	v_add3_u32 v41, 0, v19, v5
	v_sub_f32_e32 v23, v11, v23
	s_delay_alu instid0(VALU_DEP_4) | instskip(SKIP_1) | instid1(VALU_DEP_4)
	v_lshl_add_u32 v4, v0, 3, v7
	v_add_nc_u32_e32 v42, v7, v19
	v_add_nc_u32_e32 v48, 0x200, v41
	v_fma_f32 v28, v6, 2.0, -v29
	v_fma_f32 v22, v11, 2.0, -v23
	v_add_nc_u32_e32 v11, 0x400, v41
	v_lshl_add_u32 v6, v43, 3, v7
	v_lshl_add_u32 v8, v40, 3, v7
	v_add_nc_u32_e32 v47, 0x800, v41
	v_lshl_add_u32 v9, v1, 3, v7
	v_lshl_add_u32 v10, v44, 3, v7
	v_add_nc_u32_e32 v13, 0xa00, v41
	v_lshl_add_u32 v12, v45, 3, v7
	ds_store_b64 v4, v[26:27]
	ds_store_b64 v6, v[30:31]
	;; [unrolled: 1-line block ×6, first 2 shown]
	global_wb scope:SCOPE_SE
	s_wait_dscnt 0x0
	s_barrier_signal -1
	s_barrier_wait -1
	global_inv scope:SCOPE_SE
	ds_load_2addr_b32 v[26:27], v11 offset0:134 offset1:212
	ds_load_2addr_b32 v[57:58], v41 offset0:78 offset1:156
	;; [unrolled: 1-line block ×5, first 2 shown]
	ds_load_b32 v15, v42
	ds_load_b32 v46, v41 offset:3432
	global_wb scope:SCOPE_SE
	s_wait_dscnt 0x0
	s_barrier_signal -1
	s_barrier_wait -1
	global_inv scope:SCOPE_SE
	ds_store_b64 v4, v[28:29]
	ds_store_b64 v6, v[17:18]
	;; [unrolled: 1-line block ×6, first 2 shown]
	v_lshlrev_b32_e32 v4, 3, v14
	global_wb scope:SCOPE_SE
	s_wait_dscnt 0x0
	s_barrier_signal -1
	s_barrier_wait -1
	global_inv scope:SCOPE_SE
	global_load_b64 v[28:29], v4, s[4:5]
	ds_load_2addr_b32 v[34:35], v11 offset0:134 offset1:212
	ds_load_2addr_b32 v[32:33], v47 offset0:34 offset1:112
	;; [unrolled: 1-line block ×3, first 2 shown]
	ds_load_b32 v55, v42
	ds_load_b32 v56, v41 offset:3432
	v_lshlrev_b32_e32 v10, 1, v44
	v_lshlrev_b32_e32 v12, 1, v45
	;; [unrolled: 1-line block ×3, first 2 shown]
	ds_load_2addr_b32 v[38:39], v41 offset0:78 offset1:156
	ds_load_2addr_b32 v[36:37], v48 offset0:106 offset1:184
	global_wb scope:SCOPE_SE
	s_wait_loadcnt_dscnt 0x0
	v_and_or_b32 v10, 0x3fc, v10, v14
	v_and_or_b32 v12, 0x7fc, v12, v14
	;; [unrolled: 1-line block ×3, first 2 shown]
	s_barrier_signal -1
	s_barrier_wait -1
	v_lshl_add_u32 v53, v10, 2, v7
	global_inv scope:SCOPE_SE
	v_mul_f32_e32 v10, v32, v29
	v_dual_mul_f32 v13, v30, v29 :: v_dual_lshlrev_b32 v4, 1, v43
	s_delay_alu instid0(VALU_DEP_2) | instskip(NEXT) | instid1(VALU_DEP_2)
	v_fma_f32 v10, v24, v28, -v10
	v_fma_f32 v13, v22, v28, -v13
	v_lshlrev_b32_e32 v9, 1, v0
	s_delay_alu instid0(VALU_DEP_4) | instskip(NEXT) | instid1(VALU_DEP_4)
	v_and_or_b32 v17, 0x1fc, v4, v14
	v_sub_f32_e32 v20, v57, v10
	v_lshl_add_u32 v54, v12, 2, v7
	v_mul_f32_e32 v12, v33, v29
	v_lshlrev_b32_e32 v8, 1, v1
	v_and_or_b32 v16, 0xfc, v9, v14
	v_lshl_add_u32 v50, v17, 2, v7
	v_lshl_add_u32 v51, v18, 2, v7
	v_fma_f32 v12, v25, v28, -v12
	v_and_or_b32 v19, 0x3fc, v8, v14
	v_lshl_add_u32 v49, v16, 2, v7
	v_mul_f32_e32 v14, v31, v29
	v_mul_f32_e32 v16, v56, v29
	v_sub_f32_e32 v18, v58, v12
	v_lshl_add_u32 v52, v19, 2, v7
	v_mul_f32_e32 v7, v35, v29
	v_fma_f32 v17, v23, v28, -v14
	v_fma_f32 v19, v46, v28, -v16
	v_sub_f32_e32 v16, v59, v13
	v_fma_f32 v21, v58, 2.0, -v18
	v_fma_f32 v7, v27, v28, -v7
	v_sub_f32_e32 v12, v60, v17
	v_sub_f32_e32 v10, v26, v19
	v_fma_f32 v19, v59, 2.0, -v16
	s_delay_alu instid0(VALU_DEP_4) | instskip(NEXT) | instid1(VALU_DEP_4)
	v_sub_f32_e32 v14, v15, v7
	v_fma_f32 v17, v60, 2.0, -v12
	s_delay_alu instid0(VALU_DEP_4) | instskip(NEXT) | instid1(VALU_DEP_3)
	v_fma_f32 v13, v26, 2.0, -v10
	v_fma_f32 v7, v15, 2.0, -v14
	;; [unrolled: 1-line block ×3, first 2 shown]
	ds_store_2addr_b32 v49, v7, v14 offset1:2
	ds_store_2addr_b32 v50, v15, v20 offset1:2
	;; [unrolled: 1-line block ×6, first 2 shown]
	global_wb scope:SCOPE_SE
	s_wait_dscnt 0x0
	s_barrier_signal -1
	s_barrier_wait -1
	global_inv scope:SCOPE_SE
	s_and_saveexec_b32 s1, s0
	s_cbranch_execz .LBB0_12
; %bb.11:
	v_add_nc_u32_e32 v10, 0x600, v41
	v_add_nc_u32_e32 v26, 0xc00, v41
	ds_load_b32 v7, v42
	ds_load_2addr_b32 v[14:15], v41 offset0:72 offset1:144
	ds_load_2addr_b32 v[20:21], v48 offset0:88 offset1:160
	;; [unrolled: 1-line block ×6, first 2 shown]
.LBB0_12:
	s_wait_alu 0xfffe
	s_or_b32 exec_lo, exec_lo, s1
	v_mul_f32_e32 v25, v25, v29
	v_mul_f32_e32 v26, v27, v29
	;; [unrolled: 1-line block ×4, first 2 shown]
	global_wb scope:SCOPE_SE
	s_wait_dscnt 0x0
	v_fmac_f32_e32 v25, v33, v28
	v_fmac_f32_e32 v26, v35, v28
	;; [unrolled: 1-line block ×3, first 2 shown]
	v_dual_fmac_f32 v24, v32, v28 :: v_dual_mul_f32 v23, v23, v29
	s_delay_alu instid0(VALU_DEP_3) | instskip(NEXT) | instid1(VALU_DEP_3)
	v_dual_mul_f32 v29, v46, v29 :: v_dual_sub_f32 v22, v55, v26
	v_sub_f32_e32 v30, v36, v27
	s_delay_alu instid0(VALU_DEP_3) | instskip(NEXT) | instid1(VALU_DEP_4)
	v_sub_f32_e32 v32, v38, v24
	v_fmac_f32_e32 v23, v31, v28
	s_delay_alu instid0(VALU_DEP_4) | instskip(SKIP_2) | instid1(VALU_DEP_3)
	v_dual_fmac_f32 v29, v56, v28 :: v_dual_sub_f32 v28, v39, v25
	v_fma_f32 v46, v55, 2.0, -v22
	s_barrier_signal -1
	v_sub_f32_e32 v26, v37, v23
	s_delay_alu instid0(VALU_DEP_3)
	v_sub_f32_e32 v24, v34, v29
	v_fma_f32 v23, v38, 2.0, -v32
	v_fma_f32 v33, v39, 2.0, -v28
	;; [unrolled: 1-line block ×5, first 2 shown]
	s_barrier_wait -1
	global_inv scope:SCOPE_SE
	ds_store_2addr_b32 v49, v46, v22 offset1:2
	ds_store_2addr_b32 v50, v23, v32 offset1:2
	;; [unrolled: 1-line block ×6, first 2 shown]
	global_wb scope:SCOPE_SE
	s_wait_dscnt 0x0
	s_barrier_signal -1
	s_barrier_wait -1
	global_inv scope:SCOPE_SE
	s_and_saveexec_b32 s1, s0
	s_cbranch_execz .LBB0_14
; %bb.13:
	v_add_nc_u32_e32 v24, 0x200, v41
	v_add_nc_u32_e32 v25, 0x400, v41
	;; [unrolled: 1-line block ×5, first 2 shown]
	ds_load_b32 v46, v42
	ds_load_2addr_b32 v[22:23], v41 offset0:72 offset1:144
	ds_load_2addr_b32 v[32:33], v24 offset0:88 offset1:160
	ds_load_2addr_b32 v[28:29], v25 offset0:104 offset1:176
	ds_load_2addr_b32 v[30:31], v26 offset0:120 offset1:192
	ds_load_2addr_b32 v[26:27], v27 offset0:136 offset1:208
	ds_load_2addr_b32 v[24:25], v34 offset0:24 offset1:96
.LBB0_14:
	s_wait_alu 0xfffe
	s_or_b32 exec_lo, exec_lo, s1
	v_and_b32_e32 v34, 3, v0
	s_delay_alu instid0(VALU_DEP_1) | instskip(NEXT) | instid1(VALU_DEP_1)
	v_mul_u32_u24_e32 v35, 12, v34
	v_lshlrev_b32_e32 v35, 3, v35
	s_clause 0x5
	global_load_b128 v[56:59], v35, s[4:5] offset:16
	global_load_b128 v[60:63], v35, s[4:5] offset:32
	;; [unrolled: 1-line block ×6, first 2 shown]
	global_wb scope:SCOPE_SE
	s_wait_loadcnt_dscnt 0x0
	s_barrier_signal -1
	s_barrier_wait -1
	global_inv scope:SCOPE_SE
	v_mul_f32_e32 v48, v22, v57
	v_mul_f32_e32 v55, v14, v57
	v_dual_mul_f32 v51, v23, v59 :: v_dual_mul_f32 v36, v16, v69
	v_dual_mul_f32 v54, v15, v59 :: v_dual_mul_f32 v59, v32, v61
	;; [unrolled: 1-line block ×4, first 2 shown]
	s_delay_alu instid0(VALU_DEP_3) | instskip(SKIP_1) | instid1(VALU_DEP_4)
	v_dual_mul_f32 v39, v21, v63 :: v_dual_fmac_f32 v54, v23, v58
	v_dual_mul_f32 v63, v28, v65 :: v_dual_mul_f32 v50, v13, v75
	v_dual_mul_f32 v37, v18, v65 :: v_dual_fmac_f32 v38, v31, v70
	v_dual_mul_f32 v65, v29, v67 :: v_dual_fmac_f32 v36, v30, v68
	;; [unrolled: 1-line block ×3, first 2 shown]
	s_delay_alu instid0(VALU_DEP_4)
	v_dual_mul_f32 v67, v30, v69 :: v_dual_fmac_f32 v50, v27, v74
	v_mul_f32_e32 v69, v31, v71
	v_mul_f32_e32 v71, v26, v73
	;; [unrolled: 1-line block ×7, first 2 shown]
	v_fma_f32 v57, v14, v56, -v48
	v_fmac_f32_e32 v55, v22, v56
	v_fma_f32 v56, v15, v58, -v51
	v_fma_f32 v51, v20, v60, -v59
	v_fmac_f32_e32 v49, v32, v60
	v_fma_f32 v48, v21, v62, -v61
	v_fmac_f32_e32 v39, v33, v62
	;; [unrolled: 2-line block ×4, first 2 shown]
	v_fma_f32 v29, v16, v68, -v67
	v_fma_f32 v30, v17, v70, -v69
	;; [unrolled: 1-line block ×3, first 2 shown]
	v_fmac_f32_e32 v47, v26, v72
	v_fma_f32 v31, v13, v74, -v73
	v_fma_f32 v33, v10, v76, -v75
	;; [unrolled: 1-line block ×3, first 2 shown]
	v_fmac_f32_e32 v53, v25, v78
	v_lshrrev_b32_e32 v10, 2, v0
	s_and_saveexec_b32 s1, s0
	s_cbranch_execz .LBB0_16
; %bb.15:
	s_delay_alu instid0(VALU_DEP_2) | instskip(SKIP_1) | instid1(VALU_DEP_2)
	v_dual_sub_f32 v13, v55, v53 :: v_dual_add_f32 v14, v57, v11
	v_dual_add_f32 v15, v56, v33 :: v_dual_sub_f32 v16, v54, v52
	v_dual_add_f32 v17, v51, v31 :: v_dual_mul_f32 v18, 0xbe750f2a, v13
	v_dual_sub_f32 v19, v49, v50 :: v_dual_add_f32 v20, v48, v12
	s_delay_alu instid0(VALU_DEP_3) | instskip(NEXT) | instid1(VALU_DEP_3)
	v_dual_sub_f32 v21, v39, v47 :: v_dual_mul_f32 v22, 0x3eedf032, v16
	v_dual_fmamk_f32 v23, v14, 0xbf788fa5, v18 :: v_dual_add_f32 v24, v32, v30
	s_delay_alu instid0(VALU_DEP_3) | instskip(NEXT) | instid1(VALU_DEP_3)
	v_dual_sub_f32 v25, v37, v38 :: v_dual_mul_f32 v26, 0xbf29c268, v19
	v_dual_fmamk_f32 v27, v15, 0x3f62ad3f, v22 :: v_dual_add_f32 v58, v28, v29
	s_delay_alu instid0(VALU_DEP_3) | instskip(SKIP_1) | instid1(VALU_DEP_4)
	v_dual_add_f32 v23, v7, v23 :: v_dual_mul_f32 v60, 0x3f52af12, v21
	v_fma_f32 v18, 0xbf788fa5, v14, -v18
	v_fmamk_f32 v61, v17, 0xbf3f9e67, v26
	v_fma_f32 v22, 0x3f62ad3f, v15, -v22
	s_delay_alu instid0(VALU_DEP_4) | instskip(NEXT) | instid1(VALU_DEP_4)
	v_dual_sub_f32 v59, v35, v36 :: v_dual_fmamk_f32 v62, v20, 0x3f116cb1, v60
	v_add_f32_e32 v18, v7, v18
	v_add_f32_e32 v23, v27, v23
	v_fma_f32 v26, 0xbf3f9e67, v17, -v26
	v_dual_mul_f32 v68, 0xbe750f2a, v16 :: v_dual_mul_f32 v69, 0xbe750f2a, v19
	s_delay_alu instid0(VALU_DEP_4) | instskip(NEXT) | instid1(VALU_DEP_4)
	v_dual_add_f32 v18, v22, v18 :: v_dual_mul_f32 v27, 0xbf6f5d39, v25
	v_add_f32_e32 v23, v61, v23
	v_mul_f32_e32 v61, 0xbf29c268, v13
	v_mul_f32_e32 v64, 0x3f7e222b, v16
	s_delay_alu instid0(VALU_DEP_4) | instskip(SKIP_4) | instid1(VALU_DEP_4)
	v_add_f32_e32 v18, v26, v18
	v_fma_f32 v26, 0x3f116cb1, v20, -v60
	v_fmamk_f32 v63, v24, 0xbeb58ec6, v27
	v_add_f32_e32 v23, v62, v23
	v_fmamk_f32 v62, v14, 0xbf3f9e67, v61
	v_dual_mul_f32 v67, 0x3eedf032, v19 :: v_dual_add_f32 v18, v26, v18
	v_fma_f32 v26, 0xbeb58ec6, v24, -v27
	s_delay_alu instid0(VALU_DEP_4) | instskip(NEXT) | instid1(VALU_DEP_4)
	v_add_f32_e32 v23, v63, v23
	v_add_f32_e32 v60, v7, v62
	v_fmamk_f32 v62, v15, 0x3df6dbef, v64
	s_delay_alu instid0(VALU_DEP_4) | instskip(SKIP_2) | instid1(VALU_DEP_3)
	v_dual_mul_f32 v63, 0xbf52af12, v19 :: v_dual_add_f32 v18, v26, v18
	v_mul_f32_e32 v22, 0x3f7e222b, v59
	v_fma_f32 v26, 0xbf3f9e67, v14, -v61
	v_dual_add_f32 v27, v62, v60 :: v_dual_fmamk_f32 v60, v17, 0x3f116cb1, v63
	v_mul_f32_e32 v62, 0x3e750f2a, v21
	s_delay_alu instid0(VALU_DEP_3) | instskip(SKIP_1) | instid1(VALU_DEP_4)
	v_dual_fmamk_f32 v65, v58, 0x3df6dbef, v22 :: v_dual_add_f32 v26, v7, v26
	v_fma_f32 v22, 0x3df6dbef, v58, -v22
	v_add_f32_e32 v27, v60, v27
	s_delay_alu instid0(VALU_DEP_4) | instskip(SKIP_3) | instid1(VALU_DEP_4)
	v_fmamk_f32 v60, v20, 0xbf788fa5, v62
	v_mul_f32_e32 v61, 0x3eedf032, v25
	v_fma_f32 v64, 0x3df6dbef, v15, -v64
	v_add_f32_e32 v18, v22, v18
	v_dual_mul_f32 v22, 0xbf6f5d39, v13 :: v_dual_add_f32 v27, v60, v27
	s_delay_alu instid0(VALU_DEP_3) | instskip(SKIP_2) | instid1(VALU_DEP_4)
	v_dual_add_f32 v23, v65, v23 :: v_dual_add_f32 v26, v64, v26
	v_mul_f32_e32 v65, 0x3f29c268, v16
	v_fma_f32 v63, 0x3f116cb1, v17, -v63
	v_fmamk_f32 v64, v14, 0xbeb58ec6, v22
	v_fma_f32 v62, 0xbf788fa5, v20, -v62
	v_fma_f32 v22, 0xbeb58ec6, v14, -v22
	v_fmamk_f32 v66, v15, 0xbf3f9e67, v65
	v_add_f32_e32 v26, v63, v26
	v_dual_add_f32 v64, v7, v64 :: v_dual_mul_f32 v71, 0x3f7e222b, v25
	s_delay_alu instid0(VALU_DEP_2) | instskip(NEXT) | instid1(VALU_DEP_2)
	v_add_f32_e32 v26, v62, v26
	v_add_f32_e32 v62, v66, v64
	v_fmamk_f32 v60, v24, 0x3f62ad3f, v61
	v_fma_f32 v61, 0x3f62ad3f, v24, -v61
	v_mul_f32_e32 v64, 0xbf7e222b, v21
	s_delay_alu instid0(VALU_DEP_3) | instskip(SKIP_1) | instid1(VALU_DEP_1)
	v_dual_mul_f32 v66, 0xbf7e222b, v13 :: v_dual_add_f32 v27, v60, v27
	v_mul_f32_e32 v60, 0xbf6f5d39, v59
	v_fmamk_f32 v63, v58, 0xbeb58ec6, v60
	s_delay_alu instid0(VALU_DEP_1) | instskip(SKIP_2) | instid1(VALU_DEP_2)
	v_add_f32_e32 v27, v63, v27
	v_fmamk_f32 v63, v17, 0x3f62ad3f, v67
	v_add_f32_e32 v26, v61, v26
	v_dual_add_f32 v61, v63, v62 :: v_dual_fmamk_f32 v62, v20, 0x3df6dbef, v64
	v_mul_f32_e32 v63, 0x3e750f2a, v25
	s_delay_alu instid0(VALU_DEP_2) | instskip(SKIP_1) | instid1(VALU_DEP_3)
	v_add_f32_e32 v61, v62, v61
	v_fma_f32 v60, 0xbeb58ec6, v58, -v60
	v_fmamk_f32 v62, v24, 0xbf788fa5, v63
	s_delay_alu instid0(VALU_DEP_2) | instskip(SKIP_2) | instid1(VALU_DEP_4)
	v_add_f32_e32 v26, v60, v26
	v_fma_f32 v60, 0xbf3f9e67, v15, -v65
	v_mul_f32_e32 v65, 0x3f52af12, v59
	v_add_f32_e32 v61, v62, v61
	s_delay_alu instid0(VALU_DEP_2) | instskip(SKIP_2) | instid1(VALU_DEP_2)
	v_fmamk_f32 v62, v58, 0x3f116cb1, v65
	v_add_f32_e32 v22, v7, v22
	v_fma_f32 v65, 0x3f116cb1, v58, -v65
	v_dual_add_f32 v61, v62, v61 :: v_dual_add_f32 v22, v60, v22
	v_fma_f32 v60, 0x3f62ad3f, v17, -v67
	v_fmamk_f32 v67, v14, 0x3df6dbef, v66
	s_delay_alu instid0(VALU_DEP_1) | instskip(NEXT) | instid1(VALU_DEP_3)
	v_add_f32_e32 v62, v7, v67
	v_dual_mul_f32 v67, 0x3f6f5d39, v19 :: v_dual_add_f32 v22, v60, v22
	v_fma_f32 v60, 0x3df6dbef, v20, -v64
	v_fmamk_f32 v64, v15, 0xbf788fa5, v68
	s_delay_alu instid0(VALU_DEP_2) | instskip(SKIP_3) | instid1(VALU_DEP_3)
	v_dual_mul_f32 v19, 0xbf7e222b, v19 :: v_dual_add_f32 v22, v60, v22
	v_fma_f32 v60, 0xbf788fa5, v24, -v63
	v_fma_f32 v63, 0x3df6dbef, v14, -v66
	v_mul_f32_e32 v66, 0x3eedf032, v21
	v_add_f32_e32 v22, v60, v22
	s_delay_alu instid0(VALU_DEP_3) | instskip(SKIP_2) | instid1(VALU_DEP_4)
	v_add_f32_e32 v60, v7, v63
	v_fma_f32 v63, 0xbf788fa5, v15, -v68
	v_mul_f32_e32 v68, 0xbf52af12, v25
	v_dual_add_f32 v22, v65, v22 :: v_dual_mul_f32 v65, 0xbf6f5d39, v16
	v_add_f32_e32 v62, v64, v62
	v_fmamk_f32 v64, v17, 0xbeb58ec6, v67
	v_add_f32_e32 v60, v63, v60
	v_fma_f32 v63, 0xbeb58ec6, v17, -v67
	v_dual_mul_f32 v67, 0xbf52af12, v13 :: v_dual_mul_f32 v16, 0xbf52af12, v16
	s_delay_alu instid0(VALU_DEP_4) | instskip(SKIP_1) | instid1(VALU_DEP_4)
	v_add_f32_e32 v62, v64, v62
	v_fmamk_f32 v64, v20, 0x3f62ad3f, v66
	v_add_f32_e32 v60, v63, v60
	v_fma_f32 v63, 0x3f62ad3f, v20, -v66
	v_mul_f32_e32 v66, 0xbf29c268, v59
	s_delay_alu instid0(VALU_DEP_4) | instskip(SKIP_1) | instid1(VALU_DEP_4)
	v_dual_mul_f32 v13, 0xbeedf032, v13 :: v_dual_add_f32 v62, v64, v62
	v_fmamk_f32 v64, v24, 0x3f116cb1, v68
	v_add_f32_e32 v60, v63, v60
	v_fma_f32 v63, 0x3f116cb1, v24, -v68
	v_fmamk_f32 v68, v15, 0xbeb58ec6, v65
	v_fma_f32 v65, 0xbeb58ec6, v15, -v65
	v_add_f32_e32 v62, v64, v62
	v_fmamk_f32 v64, v14, 0x3f116cb1, v67
	v_fma_f32 v67, 0x3f116cb1, v14, -v67
	v_fmamk_f32 v70, v58, 0xbf3f9e67, v66
	v_add_f32_e32 v60, v63, v60
	v_fma_f32 v66, 0xbf3f9e67, v58, -v66
	v_add_f32_e32 v64, v7, v64
	s_delay_alu instid0(VALU_DEP_2) | instskip(NEXT) | instid1(VALU_DEP_2)
	v_dual_add_f32 v67, v7, v67 :: v_dual_add_f32 v60, v66, v60
	v_dual_add_f32 v63, v68, v64 :: v_dual_fmamk_f32 v64, v17, 0xbf788fa5, v69
	s_delay_alu instid0(VALU_DEP_2) | instskip(SKIP_4) | instid1(VALU_DEP_3)
	v_add_f32_e32 v65, v65, v67
	v_fma_f32 v67, 0xbf788fa5, v17, -v69
	v_add_f32_e32 v69, v7, v57
	v_mul_f32_e32 v68, 0x3f29c268, v21
	v_mul_f32_e32 v21, 0xbf6f5d39, v21
	v_dual_add_f32 v65, v67, v65 :: v_dual_add_f32 v66, v69, v56
	s_delay_alu instid0(VALU_DEP_3) | instskip(SKIP_2) | instid1(VALU_DEP_3)
	v_fma_f32 v67, 0xbf3f9e67, v20, -v68
	v_fmamk_f32 v69, v14, 0x3f62ad3f, v13
	v_fma_f32 v13, 0x3f62ad3f, v14, -v13
	v_dual_add_f32 v66, v66, v51 :: v_dual_add_f32 v65, v67, v65
	v_fma_f32 v67, 0x3df6dbef, v24, -v71
	s_delay_alu instid0(VALU_DEP_4) | instskip(NEXT) | instid1(VALU_DEP_3)
	v_add_f32_e32 v14, v7, v69
	v_dual_add_f32 v7, v7, v13 :: v_dual_add_f32 v66, v66, v48
	v_fma_f32 v13, 0x3f116cb1, v15, -v16
	s_delay_alu instid0(VALU_DEP_4) | instskip(SKIP_2) | instid1(VALU_DEP_4)
	v_add_f32_e32 v65, v67, v65
	v_fmamk_f32 v67, v15, 0x3f116cb1, v16
	v_fmamk_f32 v16, v17, 0x3df6dbef, v19
	v_dual_add_f32 v66, v66, v32 :: v_dual_add_f32 v7, v13, v7
	s_delay_alu instid0(VALU_DEP_1) | instskip(NEXT) | instid1(VALU_DEP_1)
	v_dual_add_f32 v14, v67, v14 :: v_dual_add_f32 v15, v66, v28
	v_add_f32_e32 v14, v16, v14
	s_delay_alu instid0(VALU_DEP_2) | instskip(SKIP_1) | instid1(VALU_DEP_2)
	v_dual_fmamk_f32 v16, v20, 0xbeb58ec6, v21 :: v_dual_add_f32 v13, v15, v29
	v_fma_f32 v15, 0x3df6dbef, v17, -v19
	v_dual_mul_f32 v19, 0xbf29c268, v25 :: v_dual_add_f32 v14, v16, v14
	s_delay_alu instid0(VALU_DEP_3) | instskip(NEXT) | instid1(VALU_DEP_3)
	v_add_f32_e32 v13, v13, v30
	v_add_f32_e32 v7, v15, v7
	v_fma_f32 v15, 0xbeb58ec6, v20, -v21
	v_mul_u32_u24_e32 v16, 52, v10
	s_delay_alu instid0(VALU_DEP_4) | instskip(NEXT) | instid1(VALU_DEP_3)
	v_add_f32_e32 v13, v13, v12
	v_add_f32_e32 v7, v15, v7
	v_fma_f32 v15, 0xbf3f9e67, v24, -v19
	s_delay_alu instid0(VALU_DEP_4) | instskip(NEXT) | instid1(VALU_DEP_4)
	v_or_b32_e32 v16, v16, v34
	v_add_f32_e32 v13, v13, v31
	v_fmamk_f32 v19, v24, 0xbf3f9e67, v19
	s_delay_alu instid0(VALU_DEP_4) | instskip(SKIP_1) | instid1(VALU_DEP_4)
	v_add_f32_e32 v7, v15, v7
	v_add_f32_e32 v63, v64, v63
	v_dual_add_f32 v13, v13, v33 :: v_dual_fmamk_f32 v64, v20, 0xbf3f9e67, v68
	v_mul_f32_e32 v20, 0xbe750f2a, v59
	v_lshlrev_b32_e32 v16, 2, v16
	s_delay_alu instid0(VALU_DEP_3) | instskip(NEXT) | instid1(VALU_DEP_4)
	v_dual_add_f32 v14, v19, v14 :: v_dual_add_f32 v13, v13, v11
	v_add_f32_e32 v63, v64, v63
	v_fmamk_f32 v64, v24, 0x3df6dbef, v71
	v_fma_f32 v15, 0xbf788fa5, v58, -v20
	v_fmamk_f32 v19, v58, 0xbf788fa5, v20
	s_delay_alu instid0(VALU_DEP_3) | instskip(SKIP_1) | instid1(VALU_DEP_4)
	v_add_f32_e32 v63, v64, v63
	v_mul_f32_e32 v64, 0x3eedf032, v59
	v_add_f32_e32 v7, v15, v7
	v_add3_u32 v15, 0, v16, v5
	v_add_f32_e32 v14, v19, v14
	s_delay_alu instid0(VALU_DEP_4) | instskip(SKIP_1) | instid1(VALU_DEP_2)
	v_fma_f32 v17, 0x3f62ad3f, v58, -v64
	v_fmamk_f32 v68, v58, 0x3f62ad3f, v64
	v_dual_add_f32 v16, v17, v65 :: v_dual_add_f32 v17, v70, v62
	s_delay_alu instid0(VALU_DEP_2)
	v_add_f32_e32 v20, v68, v63
	ds_store_2addr_b32 v15, v13, v7 offset1:4
	ds_store_2addr_b32 v15, v16, v60 offset0:8 offset1:12
	ds_store_2addr_b32 v15, v22, v26 offset0:16 offset1:20
	;; [unrolled: 1-line block ×5, first 2 shown]
	ds_store_b32 v15, v14 offset:192
.LBB0_16:
	s_wait_alu 0xfffe
	s_or_b32 exec_lo, exec_lo, s1
	v_add_nc_u32_e32 v7, 0x400, v41
	v_add_nc_u32_e32 v23, 0x800, v41
	;; [unrolled: 1-line block ×4, first 2 shown]
	global_wb scope:SCOPE_SE
	s_wait_dscnt 0x0
	s_barrier_signal -1
	s_barrier_wait -1
	global_inv scope:SCOPE_SE
	ds_load_2addr_b32 v[13:14], v7 offset0:134 offset1:212
	ds_load_2addr_b32 v[17:18], v41 offset0:78 offset1:156
	;; [unrolled: 1-line block ×5, first 2 shown]
	ds_load_b32 v27, v42
	ds_load_b32 v26, v41 offset:3432
	global_wb scope:SCOPE_SE
	s_wait_dscnt 0x0
	s_barrier_signal -1
	s_barrier_wait -1
	global_inv scope:SCOPE_SE
	s_and_saveexec_b32 s1, s0
	s_cbranch_execz .LBB0_18
; %bb.17:
	v_dual_add_f32 v58, v46, v55 :: v_dual_add_f32 v55, v55, v53
	v_sub_f32_e32 v11, v57, v11
	v_add_f32_e32 v57, v54, v52
	s_delay_alu instid0(VALU_DEP_3) | instskip(SKIP_1) | instid1(VALU_DEP_4)
	v_dual_sub_f32 v33, v56, v33 :: v_dual_add_f32 v54, v58, v54
	v_mul_u32_u24_e32 v10, 52, v10
	v_mul_f32_e32 v58, 0xbf52af12, v11
	v_mul_f32_e32 v59, 0xbf7e222b, v11
	s_delay_alu instid0(VALU_DEP_4)
	v_dual_mul_f32 v60, 0xbf6f5d39, v11 :: v_dual_mul_f32 v63, 0xbf6f5d39, v33
	v_add_f32_e32 v54, v54, v49
	v_mul_f32_e32 v56, 0xbeedf032, v11
	v_or_b32_e32 v10, v10, v34
	v_mul_f32_e32 v65, 0x3f29c268, v33
	v_mul_f32_e32 v64, 0xbe750f2a, v33
	v_add_f32_e32 v54, v54, v39
	v_mul_f32_e32 v61, 0xbf29c268, v11
	v_dual_mul_f32 v11, 0xbe750f2a, v11 :: v_dual_lshlrev_b32 v10, 2, v10
	s_delay_alu instid0(VALU_DEP_3)
	v_dual_sub_f32 v31, v51, v31 :: v_dual_add_f32 v54, v54, v37
	v_fmamk_f32 v67, v55, 0x3f116cb1, v58
	v_fma_f32 v58, 0x3f116cb1, v55, -v58
	v_fmamk_f32 v70, v55, 0xbf3f9e67, v61
	v_fma_f32 v61, 0xbf3f9e67, v55, -v61
	v_dual_add_f32 v54, v54, v35 :: v_dual_fmamk_f32 v69, v55, 0xbeb58ec6, v60
	s_delay_alu instid0(VALU_DEP_4) | instskip(SKIP_1) | instid1(VALU_DEP_3)
	v_add_f32_e32 v58, v46, v58
	v_dual_mul_f32 v62, 0xbf52af12, v33 :: v_dual_add_f32 v67, v46, v67
	v_dual_add_f32 v54, v54, v36 :: v_dual_fmamk_f32 v71, v55, 0xbf788fa5, v11
	v_fma_f32 v11, 0xbf788fa5, v55, -v11
	v_fmamk_f32 v72, v57, 0xbeb58ec6, v63
	v_fma_f32 v63, 0xbeb58ec6, v57, -v63
	s_delay_alu instid0(VALU_DEP_4) | instskip(SKIP_3) | instid1(VALU_DEP_4)
	v_add_f32_e32 v54, v54, v38
	v_dual_fmamk_f32 v68, v55, 0x3df6dbef, v59 :: v_dual_add_f32 v69, v46, v69
	v_fma_f32 v59, 0x3df6dbef, v55, -v59
	v_fmamk_f32 v66, v55, 0x3f62ad3f, v56
	v_add_f32_e32 v54, v54, v47
	v_fma_f32 v56, 0x3f62ad3f, v55, -v56
	v_dual_add_f32 v58, v63, v58 :: v_dual_fmamk_f32 v63, v57, 0xbf3f9e67, v65
	v_fma_f32 v60, 0xbeb58ec6, v55, -v60
	s_delay_alu instid0(VALU_DEP_4) | instskip(SKIP_3) | instid1(VALU_DEP_4)
	v_add_f32_e32 v54, v54, v50
	v_add_f32_e32 v59, v46, v59
	v_dual_fmamk_f32 v55, v57, 0x3f116cb1, v62 :: v_dual_add_f32 v66, v46, v66
	v_fma_f32 v62, 0x3f116cb1, v57, -v62
	v_dual_add_f32 v52, v54, v52 :: v_dual_add_f32 v49, v49, v50
	v_add_f32_e32 v11, v46, v11
	v_add_f32_e32 v56, v46, v56
	v_add_f32_e32 v68, v46, v68
	v_add_f32_e32 v60, v46, v60
	v_add_f32_e32 v61, v46, v61
	v_add_f32_e32 v70, v46, v70
	v_add_f32_e32 v54, v46, v71
	v_add_f32_e32 v52, v52, v53
	v_dual_add_f32 v53, v72, v67 :: v_dual_add_f32 v46, v55, v66
	v_add_f32_e32 v55, v62, v56
	v_fma_f32 v62, 0xbf788fa5, v57, -v64
	v_dual_mul_f32 v50, 0xbf7e222b, v31 :: v_dual_add_f32 v35, v35, v36
	v_add3_u32 v10, 0, v10, v5
	v_add_f32_e32 v39, v39, v47
	s_delay_alu instid0(VALU_DEP_4)
	v_dual_add_f32 v59, v62, v59 :: v_dual_add_f32 v62, v63, v69
	v_fmamk_f32 v56, v57, 0xbf788fa5, v64
	v_fma_f32 v64, 0xbf3f9e67, v57, -v65
	v_mul_f32_e32 v65, 0x3f7e222b, v33
	v_dual_mul_f32 v33, 0x3eedf032, v33 :: v_dual_sub_f32 v12, v48, v12
	v_sub_f32_e32 v30, v32, v30
	s_delay_alu instid0(VALU_DEP_4) | instskip(NEXT) | instid1(VALU_DEP_4)
	v_add_f32_e32 v60, v64, v60
	v_fma_f32 v63, 0x3df6dbef, v57, -v65
	s_delay_alu instid0(VALU_DEP_4) | instskip(SKIP_2) | instid1(VALU_DEP_4)
	v_fmamk_f32 v64, v57, 0x3f62ad3f, v33
	v_fma_f32 v33, 0x3f62ad3f, v57, -v33
	v_dual_fmamk_f32 v51, v57, 0x3df6dbef, v65 :: v_dual_sub_f32 v28, v28, v29
	v_add_f32_e32 v57, v63, v61
	v_fmamk_f32 v61, v49, 0x3df6dbef, v50
	v_mul_f32_e32 v63, 0xbe750f2a, v31
	v_add_f32_e32 v11, v33, v11
	v_fma_f32 v33, 0x3df6dbef, v49, -v50
	v_add_f32_e32 v51, v51, v70
	v_add_f32_e32 v46, v61, v46
	v_fmamk_f32 v50, v49, 0xbf788fa5, v63
	v_fma_f32 v63, 0xbf788fa5, v49, -v63
	v_add_f32_e32 v33, v33, v55
	v_mul_f32_e32 v55, 0x3eedf032, v31
	s_delay_alu instid0(VALU_DEP_4) | instskip(NEXT) | instid1(VALU_DEP_4)
	v_dual_mul_f32 v61, 0x3f6f5d39, v31 :: v_dual_add_f32 v50, v50, v53
	v_dual_add_f32 v58, v63, v58 :: v_dual_mul_f32 v47, 0xbf6f5d39, v12
	s_delay_alu instid0(VALU_DEP_3) | instskip(SKIP_1) | instid1(VALU_DEP_4)
	v_fmamk_f32 v63, v49, 0x3f62ad3f, v55
	v_fma_f32 v55, 0x3f62ad3f, v49, -v55
	v_fmamk_f32 v53, v49, 0xbeb58ec6, v61
	v_fma_f32 v61, 0xbeb58ec6, v49, -v61
	s_delay_alu instid0(VALU_DEP_3) | instskip(NEXT) | instid1(VALU_DEP_2)
	v_dual_add_f32 v55, v55, v60 :: v_dual_add_f32 v54, v64, v54
	v_add_f32_e32 v59, v61, v59
	v_dual_add_f32 v61, v63, v62 :: v_dual_add_f32 v56, v56, v68
	s_delay_alu instid0(VALU_DEP_1) | instskip(SKIP_1) | instid1(VALU_DEP_2)
	v_dual_add_f32 v53, v53, v56 :: v_dual_mul_f32 v56, 0xbf52af12, v31
	v_mul_f32_e32 v31, 0xbf29c268, v31
	v_fmamk_f32 v48, v49, 0x3f116cb1, v56
	s_delay_alu instid0(VALU_DEP_1) | instskip(SKIP_1) | instid1(VALU_DEP_2)
	v_dual_add_f32 v48, v48, v51 :: v_dual_fmamk_f32 v51, v49, 0xbf3f9e67, v31
	v_fma_f32 v31, 0xbf3f9e67, v49, -v31
	v_add_f32_e32 v51, v51, v54
	v_fma_f32 v56, 0x3f116cb1, v49, -v56
	s_delay_alu instid0(VALU_DEP_3) | instskip(SKIP_1) | instid1(VALU_DEP_3)
	v_dual_add_f32 v11, v31, v11 :: v_dual_mul_f32 v54, 0x3eedf032, v12
	v_fma_f32 v31, 0xbeb58ec6, v39, -v47
	v_dual_add_f32 v49, v56, v57 :: v_dual_fmamk_f32 v56, v39, 0xbeb58ec6, v47
	s_delay_alu instid0(VALU_DEP_1) | instskip(NEXT) | instid1(VALU_DEP_1)
	v_dual_mul_f32 v57, 0x3f29c268, v12 :: v_dual_add_f32 v46, v56, v46
	v_fma_f32 v56, 0xbf3f9e67, v39, -v57
	s_delay_alu instid0(VALU_DEP_1) | instskip(NEXT) | instid1(VALU_DEP_1)
	v_dual_add_f32 v56, v56, v58 :: v_dual_fmamk_f32 v47, v39, 0xbf3f9e67, v57
	v_add_f32_e32 v47, v47, v50
	v_fmamk_f32 v50, v39, 0x3f62ad3f, v54
	v_fma_f32 v54, 0x3f62ad3f, v39, -v54
	v_add_f32_e32 v31, v31, v33
	s_delay_alu instid0(VALU_DEP_2) | instskip(NEXT) | instid1(VALU_DEP_1)
	v_dual_mul_f32 v33, 0xbf7e222b, v12 :: v_dual_add_f32 v54, v54, v59
	v_fmamk_f32 v57, v39, 0x3df6dbef, v33
	v_fma_f32 v33, 0x3df6dbef, v39, -v33
	s_delay_alu instid0(VALU_DEP_2) | instskip(SKIP_1) | instid1(VALU_DEP_3)
	v_add_f32_e32 v57, v57, v61
	v_dual_add_f32 v50, v50, v53 :: v_dual_mul_f32 v53, 0x3e750f2a, v12
	v_dual_add_f32 v33, v33, v55 :: v_dual_mul_f32 v12, 0x3f52af12, v12
	s_delay_alu instid0(VALU_DEP_2) | instskip(NEXT) | instid1(VALU_DEP_1)
	v_dual_add_f32 v37, v37, v38 :: v_dual_fmamk_f32 v32, v39, 0xbf788fa5, v53
	v_add_f32_e32 v32, v32, v48
	s_delay_alu instid0(VALU_DEP_3) | instskip(SKIP_1) | instid1(VALU_DEP_2)
	v_fmamk_f32 v48, v39, 0x3f116cb1, v12
	v_fma_f32 v12, 0x3f116cb1, v39, -v12
	v_dual_mul_f32 v55, 0x3eedf032, v30 :: v_dual_add_f32 v48, v48, v51
	v_fma_f32 v53, 0xbf788fa5, v39, -v53
	s_delay_alu instid0(VALU_DEP_3) | instskip(NEXT) | instid1(VALU_DEP_3)
	v_dual_mul_f32 v38, 0xbf29c268, v30 :: v_dual_add_f32 v11, v12, v11
	v_fma_f32 v29, 0x3f62ad3f, v37, -v55
	s_delay_alu instid0(VALU_DEP_3) | instskip(NEXT) | instid1(VALU_DEP_3)
	v_add_f32_e32 v39, v53, v49
	v_fma_f32 v12, 0xbf3f9e67, v37, -v38
	v_fmamk_f32 v49, v37, 0xbf3f9e67, v38
	v_mul_f32_e32 v53, 0x3f7e222b, v30
	s_delay_alu instid0(VALU_DEP_4) | instskip(NEXT) | instid1(VALU_DEP_4)
	v_dual_mul_f32 v36, 0xbe750f2a, v28 :: v_dual_add_f32 v29, v29, v39
	v_dual_add_f32 v12, v12, v31 :: v_dual_mul_f32 v31, 0x3e750f2a, v30
	s_delay_alu instid0(VALU_DEP_4) | instskip(NEXT) | instid1(VALU_DEP_4)
	v_add_f32_e32 v38, v49, v46
	v_fmamk_f32 v46, v37, 0x3df6dbef, v53
	s_delay_alu instid0(VALU_DEP_4) | instskip(SKIP_1) | instid1(VALU_DEP_3)
	v_fmamk_f32 v39, v35, 0xbf788fa5, v36
	v_fma_f32 v36, 0xbf788fa5, v35, -v36
	v_add_f32_e32 v46, v46, v47
	v_fma_f32 v51, 0x3df6dbef, v37, -v53
	s_delay_alu instid0(VALU_DEP_3) | instskip(SKIP_2) | instid1(VALU_DEP_4)
	v_dual_fmamk_f32 v53, v37, 0xbf788fa5, v31 :: v_dual_add_f32 v12, v36, v12
	v_mul_f32_e32 v49, 0xbf52af12, v30
	v_fma_f32 v31, 0xbf788fa5, v37, -v31
	v_dual_mul_f32 v30, 0xbf6f5d39, v30 :: v_dual_add_f32 v51, v51, v56
	s_delay_alu instid0(VALU_DEP_3) | instskip(NEXT) | instid1(VALU_DEP_3)
	v_dual_add_f32 v38, v39, v38 :: v_dual_fmamk_f32 v47, v37, 0x3f116cb1, v49
	v_add_f32_e32 v31, v31, v33
	s_delay_alu instid0(VALU_DEP_3) | instskip(SKIP_1) | instid1(VALU_DEP_4)
	v_fmamk_f32 v33, v37, 0xbeb58ec6, v30
	v_fma_f32 v30, 0xbeb58ec6, v37, -v30
	v_dual_add_f32 v47, v47, v50 :: v_dual_add_f32 v50, v53, v57
	v_fma_f32 v49, 0x3f116cb1, v37, -v49
	v_fmamk_f32 v53, v37, 0x3f62ad3f, v55
	v_mul_f32_e32 v37, 0x3eedf032, v28
	v_dual_add_f32 v11, v30, v11 :: v_dual_mul_f32 v34, 0xbf6f5d39, v28
	s_delay_alu instid0(VALU_DEP_2) | instskip(SKIP_1) | instid1(VALU_DEP_2)
	v_dual_add_f32 v49, v49, v54 :: v_dual_fmamk_f32 v30, v35, 0x3f62ad3f, v37
	v_fma_f32 v36, 0x3f62ad3f, v35, -v37
	v_add_f32_e32 v30, v30, v46
	s_delay_alu instid0(VALU_DEP_2) | instskip(SKIP_3) | instid1(VALU_DEP_3)
	v_dual_add_f32 v36, v36, v51 :: v_dual_add_f32 v33, v33, v48
	v_mul_f32_e32 v48, 0xbf29c268, v28
	v_mul_f32_e32 v46, 0x3f52af12, v28
	;; [unrolled: 1-line block ×3, first 2 shown]
	v_dual_add_f32 v32, v53, v32 :: v_dual_fmamk_f32 v37, v35, 0xbf3f9e67, v48
	v_fma_f32 v39, 0xbf3f9e67, v35, -v48
	s_delay_alu instid0(VALU_DEP_3) | instskip(SKIP_1) | instid1(VALU_DEP_4)
	v_fmamk_f32 v48, v35, 0x3df6dbef, v28
	v_fma_f32 v28, 0x3df6dbef, v35, -v28
	v_add_f32_e32 v37, v37, v47
	v_fmamk_f32 v47, v35, 0x3f116cb1, v46
	v_fma_f32 v46, 0x3f116cb1, v35, -v46
	s_delay_alu instid0(VALU_DEP_4) | instskip(SKIP_1) | instid1(VALU_DEP_4)
	v_add_f32_e32 v11, v28, v11
	v_add_f32_e32 v39, v39, v49
	;; [unrolled: 1-line block ×3, first 2 shown]
	s_delay_alu instid0(VALU_DEP_4) | instskip(SKIP_1) | instid1(VALU_DEP_2)
	v_dual_add_f32 v31, v46, v31 :: v_dual_fmamk_f32 v46, v35, 0xbeb58ec6, v34
	v_fma_f32 v34, 0xbeb58ec6, v35, -v34
	v_dual_add_f32 v33, v48, v33 :: v_dual_add_f32 v32, v46, v32
	s_delay_alu instid0(VALU_DEP_2)
	v_add_f32_e32 v28, v34, v29
	ds_store_2addr_b32 v10, v52, v38 offset1:4
	ds_store_2addr_b32 v10, v30, v37 offset0:8 offset1:12
	ds_store_2addr_b32 v10, v47, v32 offset0:16 offset1:20
	;; [unrolled: 1-line block ×5, first 2 shown]
	ds_store_b32 v10, v12 offset:192
.LBB0_18:
	s_wait_alu 0xfffe
	s_or_b32 exec_lo, exec_lo, s1
	v_subrev_nc_u32_e32 v10, 52, v0
	v_cmp_gt_u32_e64 s0, 52, v0
	v_dual_mov_b32 v12, 0 :: v_dual_and_b32 v31, 0xffff, v1
	global_wb scope:SCOPE_SE
	s_wait_dscnt 0x0
	s_barrier_signal -1
	s_wait_alu 0xf1ff
	v_cndmask_b32_e64 v11, v10, v0, s0
	s_barrier_wait -1
	global_inv scope:SCOPE_SE
	v_mul_u32_u24_e32 v58, 0x4ec5, v31
	v_subrev_nc_u32_e32 v54, 26, v0
	v_lshlrev_b64_e32 v[28:29], 3, v[11:12]
	s_delay_alu instid0(VALU_DEP_3) | instskip(NEXT) | instid1(VALU_DEP_2)
	v_lshrrev_b32_e32 v60, 20, v58
	v_add_co_u32 v28, s0, s4, v28
	s_wait_alu 0xf1ff
	s_delay_alu instid0(VALU_DEP_3)
	v_add_co_ci_u32_e64 v29, s0, s5, v29, s0
	v_cmp_lt_u32_e64 s0, 51, v0
	global_load_b64 v[28:29], v[28:29], off offset:400
	v_and_b32_e32 v10, 0xff, v43
	v_and_b32_e32 v30, 0xff, v40
	;; [unrolled: 1-line block ×3, first 2 shown]
	s_wait_alu 0xf1ff
	v_cndmask_b32_e64 v55, 0, 0x1a0, s0
	v_cmp_gt_u32_e64 s0, 26, v0
	v_mul_lo_u16 v10, 0x4f, v10
	v_mul_lo_u16 v56, 0x4f, v30
	v_and_b32_e32 v30, 0xffff, v44
	s_wait_alu 0xf1ff
	v_cndmask_b32_e64 v68, v54, v43, s0
	v_lshrrev_b16 v57, 12, v10
	v_lshrrev_b16 v59, 12, v56
	v_mul_u32_u24_e32 v10, 0x4ec5, v30
	v_mul_u32_u24_e32 v30, 0x4ec5, v32
	s_delay_alu instid0(VALU_DEP_4) | instskip(NEXT) | instid1(VALU_DEP_4)
	v_mul_lo_u16 v31, v57, 52
	v_mul_lo_u16 v32, v59, 52
	s_delay_alu instid0(VALU_DEP_4) | instskip(NEXT) | instid1(VALU_DEP_4)
	v_lshrrev_b32_e32 v61, 20, v10
	v_lshrrev_b32_e32 v62, 20, v30
	v_mul_lo_u16 v30, v60, 52
	v_sub_nc_u16 v10, v43, v31
	v_sub_nc_u16 v31, v40, v32
	v_mul_lo_u16 v32, v61, 52
	v_mul_lo_u16 v33, v62, 52
	v_sub_nc_u16 v30, v1, v30
	v_and_b32_e32 v63, 0xff, v10
	v_and_b32_e32 v64, 0xff, v31
	v_sub_nc_u16 v10, v44, v32
	v_sub_nc_u16 v31, v45, v33
	v_and_b32_e32 v65, 0xffff, v30
	v_lshlrev_b32_e32 v30, 3, v63
	v_mad_u32_u24 v60, 0x1a0, v60, 0
	v_mad_u32_u24 v61, 0x1a0, v61, 0
	v_and_b32_e32 v67, 0xffff, v31
	v_lshlrev_b32_e32 v34, 3, v65
	global_load_b64 v[30:31], v30, s[4:5] offset:400
	v_and_b32_e32 v66, 0xffff, v10
	v_lshlrev_b32_e32 v10, 3, v64
	v_mad_u32_u24 v62, 0x1a0, v62, 0
	s_delay_alu instid0(VALU_DEP_3)
	v_lshlrev_b32_e32 v36, 3, v66
	global_load_b64 v[32:33], v10, s[4:5] offset:400
	v_lshlrev_b32_e32 v10, 3, v67
	s_clause 0x2
	global_load_b64 v[34:35], v34, s[4:5] offset:400
	global_load_b64 v[36:37], v36, s[4:5] offset:400
	;; [unrolled: 1-line block ×3, first 2 shown]
	ds_load_2addr_b32 v[44:45], v7 offset0:134 offset1:212
	ds_load_2addr_b32 v[46:47], v41 offset0:78 offset1:156
	;; [unrolled: 1-line block ×5, first 2 shown]
	v_mov_b32_e32 v10, v12
	ds_load_b32 v43, v42
	ds_load_b32 v69, v41 offset:3432
	v_add_nc_u32_e32 v70, 0, v55
	v_lshlrev_b32_e32 v71, 2, v11
	v_lshlrev_b32_e32 v11, 1, v68
	v_lshlrev_b64_e32 v[54:55], 3, v[9:10]
	v_lshrrev_b32_e32 v10, 21, v58
	v_lshrrev_b16 v9, 13, v56
	v_add3_u32 v58, v70, v71, v5
	v_and_b32_e32 v70, 0xffff, v57
	v_lshlrev_b64_e32 v[56:57], 3, v[11:12]
	v_mul_lo_u16 v72, 0x68, v10
	v_add_co_u32 v10, s0, s4, v54
	s_wait_alu 0xf1ff
	v_add_co_ci_u32_e64 v11, s0, s5, v55, s0
	s_delay_alu instid0(VALU_DEP_4)
	v_add_co_u32 v54, s0, s4, v56
	s_wait_alu 0xf1ff
	v_add_co_ci_u32_e64 v55, s0, s5, v57, s0
	v_lshlrev_b32_e32 v57, 2, v63
	v_lshlrev_b32_e32 v63, 2, v64
	;; [unrolled: 1-line block ×5, first 2 shown]
	v_mul_lo_u16 v71, 0x68, v9
	global_wb scope:SCOPE_SE
	s_wait_loadcnt_dscnt 0x0
	s_barrier_signal -1
	s_barrier_wait -1
	global_inv scope:SCOPE_SE
	v_sub_nc_u16 v71, v40, v71
	v_sub_nc_u16 v72, v1, v72
	v_cmp_lt_u32_e64 s0, 25, v0
	v_mul_f32_e32 v67, v45, v29
	v_mul_f32_e32 v29, v14, v29
	s_delay_alu instid0(VALU_DEP_2) | instskip(NEXT) | instid1(VALU_DEP_2)
	v_fma_f32 v14, v14, v28, -v67
	v_fmac_f32_e32 v29, v45, v28
	v_add3_u32 v45, v61, v65, v5
	s_delay_alu instid0(VALU_DEP_3) | instskip(NEXT) | instid1(VALU_DEP_3)
	v_sub_f32_e32 v14, v27, v14
	v_sub_f32_e32 v29, v43, v29
	s_delay_alu instid0(VALU_DEP_2) | instskip(SKIP_3) | instid1(VALU_DEP_2)
	v_fma_f32 v27, v27, 2.0, -v14
	ds_store_2addr_b32 v58, v27, v14 offset1:52
	v_mul_f32_e32 v61, v48, v31
	v_mul_f32_e32 v31, v21, v31
	v_fma_f32 v21, v21, v30, -v61
	s_delay_alu instid0(VALU_DEP_1)
	v_dual_fmac_f32 v31, v48, v30 :: v_dual_sub_f32 v14, v17, v21
	v_mul_f32_e32 v65, v69, v39
	v_mul_f32_e32 v39, v26, v39
	v_add3_u32 v28, v60, v64, v5
	v_mul_f32_e32 v64, v53, v37
	v_mul_f32_e32 v37, v20, v37
	v_fma_f32 v26, v26, v38, -v65
	v_mad_u32_u24 v70, 0x1a0, v70, 0
	v_sub_f32_e32 v27, v46, v31
	v_fma_f32 v20, v20, v36, -v64
	v_fmac_f32_e32 v37, v53, v36
	v_add3_u32 v60, v62, v66, v5
	v_mul_f32_e32 v62, v49, v33
	s_delay_alu instid0(VALU_DEP_4) | instskip(SKIP_2) | instid1(VALU_DEP_4)
	v_dual_mul_f32 v33, v22, v33 :: v_dual_sub_f32 v20, v16, v20
	v_add3_u32 v57, v70, v57, v5
	v_fma_f32 v66, v43, 2.0, -v29
	v_fma_f32 v22, v22, v32, -v62
	s_delay_alu instid0(VALU_DEP_4) | instskip(SKIP_2) | instid1(VALU_DEP_3)
	v_fmac_f32_e32 v33, v49, v32
	v_dual_sub_f32 v32, v51, v37 :: v_dual_and_b32 v59, 0xffff, v59
	v_fma_f32 v17, v17, 2.0, -v14
	v_dual_sub_f32 v21, v18, v22 :: v_dual_sub_f32 v30, v47, v33
	s_delay_alu instid0(VALU_DEP_3) | instskip(SKIP_2) | instid1(VALU_DEP_4)
	v_mad_u32_u24 v59, 0x1a0, v59, 0
	v_sub_f32_e32 v22, v13, v26
	v_fma_f32 v33, v46, 2.0, -v27
	v_fma_f32 v18, v18, 2.0, -v21
	;; [unrolled: 1-line block ×3, first 2 shown]
	v_add3_u32 v59, v59, v63, v5
	v_mul_f32_e32 v63, v52, v35
	v_mul_f32_e32 v35, v19, v35
	v_and_b32_e32 v56, 0xff, v71
	v_fma_f32 v16, v16, 2.0, -v20
	v_fma_f32 v48, v51, 2.0, -v32
	v_fma_f32 v19, v19, v34, -v63
	v_fmac_f32_e32 v35, v52, v34
	v_fmac_f32_e32 v39, v69, v38
	v_fma_f32 v13, v13, 2.0, -v22
	s_delay_alu instid0(VALU_DEP_4) | instskip(NEXT) | instid1(VALU_DEP_4)
	v_sub_f32_e32 v19, v15, v19
	v_sub_f32_e32 v31, v50, v35
	s_delay_alu instid0(VALU_DEP_4) | instskip(NEXT) | instid1(VALU_DEP_3)
	v_sub_f32_e32 v26, v44, v39
	v_fma_f32 v15, v15, 2.0, -v19
	s_delay_alu instid0(VALU_DEP_3) | instskip(NEXT) | instid1(VALU_DEP_3)
	v_fma_f32 v47, v50, 2.0, -v31
	v_fma_f32 v49, v44, 2.0, -v26
	ds_store_2addr_b32 v57, v17, v14 offset1:52
	ds_store_2addr_b32 v59, v18, v21 offset1:52
	;; [unrolled: 1-line block ×5, first 2 shown]
	global_wb scope:SCOPE_SE
	s_wait_dscnt 0x0
	s_barrier_signal -1
	s_barrier_wait -1
	global_inv scope:SCOPE_SE
	ds_load_2addr_b32 v[21:22], v25 offset0:106 offset1:184
	ds_load_2addr_b32 v[34:35], v23 offset0:34 offset1:112
	ds_load_2addr_b32 v[36:37], v41 offset0:78 offset1:156
	ds_load_2addr_b32 v[38:39], v7 offset0:134 offset1:212
	ds_load_2addr_b32 v[43:44], v24 offset0:62 offset1:140
	ds_load_b32 v61, v42
	ds_load_b32 v62, v41 offset:3432
	global_wb scope:SCOPE_SE
	s_wait_dscnt 0x0
	s_barrier_signal -1
	s_barrier_wait -1
	global_inv scope:SCOPE_SE
	ds_store_2addr_b32 v58, v66, v29 offset1:52
	ds_store_2addr_b32 v57, v33, v27 offset1:52
	;; [unrolled: 1-line block ×6, first 2 shown]
	global_wb scope:SCOPE_SE
	s_wait_dscnt 0x0
	s_barrier_signal -1
	s_barrier_wait -1
	global_inv scope:SCOPE_SE
	s_clause 0x1
	global_load_b128 v[13:16], v[10:11], off offset:816
	global_load_b128 v[17:20], v[54:55], off offset:816
	v_and_b32_e32 v47, 0xffff, v72
	v_lshlrev_b32_e32 v26, 4, v56
	s_wait_alu 0xf1ff
	v_cndmask_b32_e64 v45, 0, 0x4e0, s0
	v_and_b32_e32 v9, 0xffff, v9
	v_lshlrev_b32_e32 v54, 2, v68
	v_lshlrev_b32_e32 v30, 4, v47
	s_clause 0x1
	global_load_b128 v[26:29], v26, s[4:5] offset:816
	global_load_b128 v[30:33], v30, s[4:5] offset:816
	v_add_nc_u32_e32 v53, 0, v45
	ds_load_2addr_b32 v[45:46], v25 offset0:106 offset1:184
	ds_load_2addr_b32 v[49:50], v7 offset0:134 offset1:212
	v_lshlrev_b32_e32 v56, 2, v56
	ds_load_2addr_b32 v[51:52], v24 offset0:62 offset1:140
	s_wait_loadcnt_dscnt 0x302
	v_mul_f32_e32 v59, v46, v14
	v_dual_mul_f32 v14, v22, v14 :: v_dual_lshlrev_b32 v55, 2, v47
	ds_load_2addr_b32 v[47:48], v23 offset0:34 offset1:112
	s_wait_loadcnt_dscnt 0x202
	v_mul_f32_e32 v63, v49, v18
	v_mul_f32_e32 v18, v38, v18
	s_wait_dscnt 0x1
	v_mul_f32_e32 v64, v51, v20
	v_add3_u32 v55, 0, v55, v5
	v_mul_f32_e32 v20, v43, v20
	v_fma_f32 v22, v22, v13, -v59
	s_wait_loadcnt 0x1
	v_dual_mul_f32 v66, v52, v29 :: v_dual_mul_f32 v65, v50, v27
	v_fmac_f32_e32 v18, v49, v17
	v_dual_mul_f32 v29, v44, v29 :: v_dual_fmac_f32 v20, v51, v19
	v_fmac_f32_e32 v14, v46, v13
	s_wait_dscnt 0x0
	v_mul_f32_e32 v60, v48, v16
	v_mul_f32_e32 v16, v35, v16
	v_mad_u32_u24 v9, 0x4e0, v9, 0
	v_add3_u32 v57, v53, v54, v5
	s_wait_loadcnt 0x0
	v_mul_f32_e32 v67, v47, v31
	v_mul_f32_e32 v31, v34, v31
	v_fmac_f32_e32 v16, v48, v15
	v_add3_u32 v5, v9, v56, v5
	ds_load_b32 v56, v42
	ds_load_b32 v58, v41 offset:3432
	ds_load_2addr_b32 v[53:54], v41 offset0:78 offset1:156
	v_add_nc_u32_e32 v9, 0x800, v55
	v_mul_f32_e32 v27, v39, v27
	v_fma_f32 v13, v35, v15, -v60
	v_fma_f32 v15, v38, v17, -v63
	;; [unrolled: 1-line block ×4, first 2 shown]
	v_fmac_f32_e32 v29, v52, v28
	v_fmac_f32_e32 v31, v47, v30
	v_sub_f32_e32 v35, v14, v16
	v_add_f32_e32 v43, v15, v17
	v_add_f32_e32 v39, v36, v15
	v_sub_f32_e32 v15, v15, v17
	global_wb scope:SCOPE_SE
	s_wait_dscnt 0x0
	s_barrier_signal -1
	s_barrier_wait -1
	global_inv scope:SCOPE_SE
	v_add_f32_e32 v38, v56, v14
	v_mul_f32_e32 v68, v58, v33
	v_mul_f32_e32 v33, v62, v33
	v_add_f32_e32 v14, v14, v16
	v_add_f32_e32 v46, v53, v18
	;; [unrolled: 1-line block ×3, first 2 shown]
	s_delay_alu instid0(VALU_DEP_4)
	v_fmac_f32_e32 v33, v58, v32
	v_fmac_f32_e32 v27, v50, v26
	v_fma_f32 v26, v44, v28, -v66
	v_fma_f32 v28, v34, v30, -v67
	;; [unrolled: 1-line block ×3, first 2 shown]
	v_sub_f32_e32 v58, v31, v33
	v_add_f32_e32 v34, v22, v13
	v_add_f32_e32 v32, v61, v22
	v_sub_f32_e32 v44, v18, v20
	v_dual_add_f32 v18, v18, v20 :: v_dual_add_f32 v47, v37, v19
	v_add_f32_e32 v48, v19, v26
	v_dual_sub_f32 v49, v27, v29 :: v_dual_add_f32 v50, v54, v27
	v_dual_add_f32 v27, v27, v29 :: v_dual_add_f32 v52, v28, v30
	v_dual_sub_f32 v22, v22, v13 :: v_dual_fmac_f32 v61, -0.5, v34
	v_sub_f32_e32 v19, v19, v26
	v_dual_add_f32 v31, v31, v33 :: v_dual_add_f32 v34, v46, v20
	s_delay_alu instid0(VALU_DEP_4)
	v_dual_add_f32 v13, v32, v13 :: v_dual_fmac_f32 v54, -0.5, v27
	v_add_f32_e32 v32, v38, v16
	v_fmac_f32_e32 v56, -0.5, v14
	v_fma_f32 v16, -0.5, v43, v36
	v_dual_add_f32 v51, v21, v28 :: v_dual_sub_f32 v28, v28, v30
	v_fma_f32 v36, -0.5, v18, v53
	v_fmac_f32_e32 v37, -0.5, v48
	v_dual_fmac_f32 v21, -0.5, v52 :: v_dual_add_f32 v14, v39, v17
	v_fmamk_f32 v20, v35, 0x3f5db3d7, v61
	v_fmac_f32_e32 v61, 0xbf5db3d7, v35
	v_fmac_f32_e32 v45, -0.5, v31
	v_fmamk_f32 v27, v22, 0xbf5db3d7, v56
	v_fmac_f32_e32 v56, 0x3f5db3d7, v22
	v_fmamk_f32 v22, v44, 0x3f5db3d7, v16
	v_dual_fmac_f32 v16, 0xbf5db3d7, v44 :: v_dual_add_f32 v17, v47, v26
	v_add_f32_e32 v26, v50, v29
	v_add_f32_e32 v18, v51, v30
	v_fmamk_f32 v29, v15, 0xbf5db3d7, v36
	v_dual_fmac_f32 v36, 0x3f5db3d7, v15 :: v_dual_fmamk_f32 v15, v49, 0x3f5db3d7, v37
	v_dual_fmac_f32 v37, 0xbf5db3d7, v49 :: v_dual_fmamk_f32 v30, v19, 0xbf5db3d7, v54
	;; [unrolled: 1-line block ×3, first 2 shown]
	v_fmac_f32_e32 v21, 0xbf5db3d7, v58
	ds_store_2addr_b32 v41, v13, v20 offset1:104
	ds_store_b32 v41, v61 offset:832
	ds_store_2addr_b32 v57, v14, v22 offset1:104
	ds_store_b32 v57, v16 offset:832
	;; [unrolled: 2-line block ×3, first 2 shown]
	ds_store_2addr_b32 v9, v18, v19 offset0:112 offset1:216
	ds_store_b32 v55, v21 offset:3328
	global_wb scope:SCOPE_SE
	s_wait_dscnt 0x0
	s_barrier_signal -1
	s_barrier_wait -1
	global_inv scope:SCOPE_SE
	ds_load_2addr_b32 v[15:16], v25 offset0:106 offset1:184
	ds_load_2addr_b32 v[17:18], v23 offset0:34 offset1:112
	;; [unrolled: 1-line block ×5, first 2 shown]
	ds_load_b32 v23, v42
	ds_load_b32 v24, v41 offset:3432
	v_add_f32_e32 v7, v59, v33
	v_fmamk_f32 v25, v28, 0xbf5db3d7, v45
	v_fmac_f32_e32 v45, 0x3f5db3d7, v28
	global_wb scope:SCOPE_SE
	s_wait_dscnt 0x0
	s_barrier_signal -1
	s_barrier_wait -1
	global_inv scope:SCOPE_SE
	ds_store_2addr_b32 v41, v32, v27 offset1:104
	ds_store_b32 v41, v56 offset:832
	ds_store_2addr_b32 v57, v34, v29 offset1:104
	ds_store_b32 v57, v36 offset:832
	;; [unrolled: 2-line block ×3, first 2 shown]
	ds_store_2addr_b32 v9, v7, v25 offset0:112 offset1:216
	ds_store_b32 v55, v45 offset:3328
	global_wb scope:SCOPE_SE
	s_wait_dscnt 0x0
	s_barrier_signal -1
	s_barrier_wait -1
	global_inv scope:SCOPE_SE
	s_and_saveexec_b32 s0, vcc_lo
	s_cbranch_execz .LBB0_20
; %bb.19:
	v_mov_b32_e32 v9, v12
	v_mov_b32_e32 v7, v12
	;; [unrolled: 1-line block ×3, first 2 shown]
	v_lshrrev_b32_e32 v38, 3, v1
	s_delay_alu instid0(VALU_DEP_4) | instskip(NEXT) | instid1(VALU_DEP_4)
	v_lshlrev_b64_e32 v[8:9], 3, v[8:9]
	v_lshlrev_b64_e32 v[6:7], 3, v[6:7]
	s_delay_alu instid0(VALU_DEP_4) | instskip(NEXT) | instid1(VALU_DEP_3)
	v_lshlrev_b64_e32 v[25:26], 3, v[4:5]
	v_add_co_u32 v4, vcc_lo, s4, v8
	s_wait_alu 0xfffd
	s_delay_alu instid0(VALU_DEP_4) | instskip(NEXT) | instid1(VALU_DEP_4)
	v_add_co_ci_u32_e32 v5, vcc_lo, s5, v9, vcc_lo
	v_add_co_u32 v8, vcc_lo, s4, v6
	s_wait_alu 0xfffd
	v_add_co_ci_u32_e32 v9, vcc_lo, s5, v7, vcc_lo
	v_add_co_u32 v29, vcc_lo, s4, v25
	s_wait_alu 0xfffd
	v_add_co_ci_u32_e32 v30, vcc_lo, s5, v26, vcc_lo
	s_clause 0x3
	global_load_b128 v[4:7], v[4:5], off offset:2480
	global_load_b128 v[25:28], v[8:9], off offset:2480
	;; [unrolled: 1-line block ×4, first 2 shown]
	v_lshrrev_b32_e32 v8, 3, v40
	v_mul_hi_u32 v40, 0x1a41a41b, v38
	v_add_nc_u32_e32 v10, 0x200, v41
	v_add_nc_u32_e32 v11, 0x800, v41
	;; [unrolled: 1-line block ×3, first 2 shown]
	v_mul_hi_u32 v37, 0x1a41a41b, v8
	v_add_nc_u32_e32 v43, 0xa00, v41
	ds_load_2addr_b32 v[8:9], v41 offset0:78 offset1:156
	ds_load_b32 v45, v41 offset:3432
	ds_load_b32 v46, v42
	v_add_co_u32 v47, vcc_lo, s8, v2
	s_wait_alu 0xfffd
	v_add_co_ci_u32_e32 v48, vcc_lo, s9, v3, vcc_lo
	v_mov_b32_e32 v1, v12
	v_lshrrev_b32_e32 v41, 2, v37
	ds_load_2addr_b32 v[2:3], v10 offset0:106 offset1:184
	ds_load_2addr_b32 v[37:38], v11 offset0:34 offset1:112
	v_lshrrev_b32_e32 v10, 2, v40
	v_mul_u32_u24_e32 v11, 0x270, v41
	ds_load_2addr_b32 v[39:40], v39 offset0:134 offset1:212
	ds_load_2addr_b32 v[41:42], v43 offset0:62 offset1:140
	v_lshlrev_b64_e32 v[43:44], 3, v[11:12]
	v_mul_u32_u24_e32 v11, 0x270, v10
	s_delay_alu instid0(VALU_DEP_1)
	v_lshlrev_b64_e32 v[10:11], 3, v[11:12]
	s_wait_loadcnt 0x3
	v_mul_f32_e32 v12, v17, v5
	s_wait_loadcnt_dscnt 0x101
	v_mul_f32_e32 v50, v39, v30
	v_mul_f32_e32 v30, v19, v30
	v_lshlrev_b64_e32 v[0:1], 3, v[0:1]
	s_wait_loadcnt 0x0
	v_dual_mul_f32 v5, v37, v5 :: v_dual_mul_f32 v52, v3, v34
	s_wait_dscnt 0x0
	v_mul_f32_e32 v49, v42, v28
	v_mul_f32_e32 v28, v22, v28
	;; [unrolled: 1-line block ×3, first 2 shown]
	v_add_co_u32 v0, vcc_lo, v47, v0
	s_wait_alu 0xfffd
	v_add_co_ci_u32_e32 v1, vcc_lo, v48, v1, vcc_lo
	v_mul_f32_e32 v48, v40, v26
	v_dual_mul_f32 v47, v24, v7 :: v_dual_mul_f32 v32, v21, v32
	v_dual_mul_f32 v7, v45, v7 :: v_dual_mul_f32 v34, v16, v34
	v_mul_f32_e32 v26, v20, v26
	v_fmac_f32_e32 v12, v37, v4
	v_fma_f32 v4, v17, v4, -v5
	v_fma_f32 v5, v20, v25, -v48
	v_dual_mul_f32 v53, v38, v36 :: v_dual_fmac_f32 v30, v29, v39
	v_dual_mul_f32 v36, v18, v36 :: v_dual_fmac_f32 v47, v45, v6
	v_fma_f32 v6, v24, v6, -v7
	v_fmac_f32_e32 v28, v27, v42
	v_fma_f32 v7, v19, v29, -v50
	v_fmac_f32_e32 v32, v31, v41
	v_fma_f32 v19, v21, v31, -v51
	v_dual_add_f32 v31, v14, v5 :: v_dual_fmac_f32 v26, v25, v40
	v_fma_f32 v17, v22, v27, -v49
	v_fma_f32 v16, v16, v33, -v52
	;; [unrolled: 1-line block ×3, first 2 shown]
	v_fmac_f32_e32 v34, v33, v3
	s_delay_alu instid0(VALU_DEP_4)
	v_dual_fmac_f32 v36, v35, v38 :: v_dual_sub_f32 v25, v5, v17
	v_add_f32_e32 v3, v12, v47
	v_dual_add_f32 v21, v26, v28 :: v_dual_add_f32 v20, v4, v6
	v_sub_f32_e32 v29, v26, v28
	v_dual_add_f32 v26, v26, v9 :: v_dual_add_f32 v37, v7, v19
	v_dual_sub_f32 v22, v4, v6 :: v_dual_add_f32 v27, v5, v17
	v_dual_sub_f32 v24, v12, v47 :: v_dual_add_f32 v35, v30, v32
	v_dual_add_f32 v12, v2, v12 :: v_dual_sub_f32 v33, v7, v19
	v_dual_add_f32 v4, v15, v4 :: v_dual_add_f32 v39, v13, v7
	v_dual_sub_f32 v40, v16, v18 :: v_dual_add_f32 v41, v34, v36
	v_dual_add_f32 v42, v16, v18 :: v_dual_sub_f32 v45, v34, v36
	v_fma_f32 v7, -0.5, v21, v9
	v_dual_sub_f32 v38, v30, v32 :: v_dual_add_f32 v5, v12, v47
	v_add_f32_e32 v30, v30, v8
	v_add_f32_e32 v34, v34, v46
	v_fma_f32 v3, -0.5, v3, v2
	v_fma_f32 v2, -0.5, v20, v15
	v_dual_add_f32 v15, v28, v26 :: v_dual_add_f32 v48, v23, v16
	s_delay_alu instid0(VALU_DEP_3)
	v_dual_add_f32 v4, v4, v6 :: v_dual_fmamk_f32 v21, v22, 0xbf5db3d7, v3
	v_fma_f32 v6, -0.5, v27, v14
	v_fma_f32 v16, -0.5, v42, v23
	v_dual_fmamk_f32 v23, v25, 0x3f5db3d7, v7 :: v_dual_add_f32 v14, v31, v17
	v_fma_f32 v17, -0.5, v41, v46
	v_fma_f32 v9, -0.5, v35, v8
	;; [unrolled: 1-line block ×3, first 2 shown]
	v_add_co_u32 v43, vcc_lo, v0, v43
	v_dual_add_f32 v13, v32, v30 :: v_dual_add_f32 v12, v39, v19
	v_fmac_f32_e32 v3, 0x3f5db3d7, v22
	v_add_f32_e32 v19, v36, v34
	v_dual_add_f32 v18, v48, v18 :: v_dual_fmac_f32 v7, 0xbf5db3d7, v25
	s_wait_alu 0xfffd
	v_add_co_ci_u32_e32 v44, vcc_lo, v1, v44, vcc_lo
	v_fmamk_f32 v22, v29, 0xbf5db3d7, v6
	v_fmamk_f32 v27, v40, 0x3f5db3d7, v17
	;; [unrolled: 1-line block ×3, first 2 shown]
	v_fmac_f32_e32 v16, 0x3f5db3d7, v45
	v_fmac_f32_e32 v17, 0xbf5db3d7, v40
	v_add_co_u32 v10, vcc_lo, v0, v10
	v_dual_fmamk_f32 v20, v24, 0x3f5db3d7, v2 :: v_dual_fmamk_f32 v25, v33, 0x3f5db3d7, v9
	v_dual_fmac_f32 v2, 0xbf5db3d7, v24 :: v_dual_fmac_f32 v9, 0xbf5db3d7, v33
	v_fmamk_f32 v24, v38, 0xbf5db3d7, v8
	v_fmac_f32_e32 v8, 0x3f5db3d7, v38
	s_wait_alu 0xfffd
	v_add_co_ci_u32_e32 v11, vcc_lo, v1, v11, vcc_lo
	v_fmac_f32_e32 v6, 0x3f5db3d7, v29
	s_clause 0xb
	global_store_b64 v[0:1], v[18:19], off
	global_store_b64 v[0:1], v[12:13], off offset:624
	global_store_b64 v[0:1], v[16:17], off offset:2496
	;; [unrolled: 1-line block ×11, first 2 shown]
.LBB0_20:
	s_nop 0
	s_sendmsg sendmsg(MSG_DEALLOC_VGPRS)
	s_endpgm
	.section	.rodata,"a",@progbits
	.p2align	6, 0x0
	.amdhsa_kernel fft_rtc_fwd_len936_factors_2_2_13_2_3_3_wgs_234_tpt_78_halfLds_sp_ip_CI_unitstride_sbrr_dirReg
		.amdhsa_group_segment_fixed_size 0
		.amdhsa_private_segment_fixed_size 0
		.amdhsa_kernarg_size 88
		.amdhsa_user_sgpr_count 2
		.amdhsa_user_sgpr_dispatch_ptr 0
		.amdhsa_user_sgpr_queue_ptr 0
		.amdhsa_user_sgpr_kernarg_segment_ptr 1
		.amdhsa_user_sgpr_dispatch_id 0
		.amdhsa_user_sgpr_private_segment_size 0
		.amdhsa_wavefront_size32 1
		.amdhsa_uses_dynamic_stack 0
		.amdhsa_enable_private_segment 0
		.amdhsa_system_sgpr_workgroup_id_x 1
		.amdhsa_system_sgpr_workgroup_id_y 0
		.amdhsa_system_sgpr_workgroup_id_z 0
		.amdhsa_system_sgpr_workgroup_info 0
		.amdhsa_system_vgpr_workitem_id 0
		.amdhsa_next_free_vgpr 80
		.amdhsa_next_free_sgpr 32
		.amdhsa_reserve_vcc 1
		.amdhsa_float_round_mode_32 0
		.amdhsa_float_round_mode_16_64 0
		.amdhsa_float_denorm_mode_32 3
		.amdhsa_float_denorm_mode_16_64 3
		.amdhsa_fp16_overflow 0
		.amdhsa_workgroup_processor_mode 1
		.amdhsa_memory_ordered 1
		.amdhsa_forward_progress 0
		.amdhsa_round_robin_scheduling 0
		.amdhsa_exception_fp_ieee_invalid_op 0
		.amdhsa_exception_fp_denorm_src 0
		.amdhsa_exception_fp_ieee_div_zero 0
		.amdhsa_exception_fp_ieee_overflow 0
		.amdhsa_exception_fp_ieee_underflow 0
		.amdhsa_exception_fp_ieee_inexact 0
		.amdhsa_exception_int_div_zero 0
	.end_amdhsa_kernel
	.text
.Lfunc_end0:
	.size	fft_rtc_fwd_len936_factors_2_2_13_2_3_3_wgs_234_tpt_78_halfLds_sp_ip_CI_unitstride_sbrr_dirReg, .Lfunc_end0-fft_rtc_fwd_len936_factors_2_2_13_2_3_3_wgs_234_tpt_78_halfLds_sp_ip_CI_unitstride_sbrr_dirReg
                                        ; -- End function
	.section	.AMDGPU.csdata,"",@progbits
; Kernel info:
; codeLenInByte = 10368
; NumSgprs: 34
; NumVgprs: 80
; ScratchSize: 0
; MemoryBound: 0
; FloatMode: 240
; IeeeMode: 1
; LDSByteSize: 0 bytes/workgroup (compile time only)
; SGPRBlocks: 4
; VGPRBlocks: 9
; NumSGPRsForWavesPerEU: 34
; NumVGPRsForWavesPerEU: 80
; Occupancy: 16
; WaveLimiterHint : 1
; COMPUTE_PGM_RSRC2:SCRATCH_EN: 0
; COMPUTE_PGM_RSRC2:USER_SGPR: 2
; COMPUTE_PGM_RSRC2:TRAP_HANDLER: 0
; COMPUTE_PGM_RSRC2:TGID_X_EN: 1
; COMPUTE_PGM_RSRC2:TGID_Y_EN: 0
; COMPUTE_PGM_RSRC2:TGID_Z_EN: 0
; COMPUTE_PGM_RSRC2:TIDIG_COMP_CNT: 0
	.text
	.p2alignl 7, 3214868480
	.fill 96, 4, 3214868480
	.type	__hip_cuid_5e163d745bbf9706,@object ; @__hip_cuid_5e163d745bbf9706
	.section	.bss,"aw",@nobits
	.globl	__hip_cuid_5e163d745bbf9706
__hip_cuid_5e163d745bbf9706:
	.byte	0                               ; 0x0
	.size	__hip_cuid_5e163d745bbf9706, 1

	.ident	"AMD clang version 19.0.0git (https://github.com/RadeonOpenCompute/llvm-project roc-6.4.0 25133 c7fe45cf4b819c5991fe208aaa96edf142730f1d)"
	.section	".note.GNU-stack","",@progbits
	.addrsig
	.addrsig_sym __hip_cuid_5e163d745bbf9706
	.amdgpu_metadata
---
amdhsa.kernels:
  - .args:
      - .actual_access:  read_only
        .address_space:  global
        .offset:         0
        .size:           8
        .value_kind:     global_buffer
      - .offset:         8
        .size:           8
        .value_kind:     by_value
      - .actual_access:  read_only
        .address_space:  global
        .offset:         16
        .size:           8
        .value_kind:     global_buffer
      - .actual_access:  read_only
        .address_space:  global
        .offset:         24
        .size:           8
        .value_kind:     global_buffer
      - .offset:         32
        .size:           8
        .value_kind:     by_value
      - .actual_access:  read_only
        .address_space:  global
        .offset:         40
        .size:           8
        .value_kind:     global_buffer
      - .actual_access:  read_only
        .address_space:  global
        .offset:         48
        .size:           8
        .value_kind:     global_buffer
      - .offset:         56
        .size:           4
        .value_kind:     by_value
      - .actual_access:  read_only
        .address_space:  global
        .offset:         64
        .size:           8
        .value_kind:     global_buffer
      - .actual_access:  read_only
        .address_space:  global
        .offset:         72
        .size:           8
        .value_kind:     global_buffer
      - .address_space:  global
        .offset:         80
        .size:           8
        .value_kind:     global_buffer
    .group_segment_fixed_size: 0
    .kernarg_segment_align: 8
    .kernarg_segment_size: 88
    .language:       OpenCL C
    .language_version:
      - 2
      - 0
    .max_flat_workgroup_size: 234
    .name:           fft_rtc_fwd_len936_factors_2_2_13_2_3_3_wgs_234_tpt_78_halfLds_sp_ip_CI_unitstride_sbrr_dirReg
    .private_segment_fixed_size: 0
    .sgpr_count:     34
    .sgpr_spill_count: 0
    .symbol:         fft_rtc_fwd_len936_factors_2_2_13_2_3_3_wgs_234_tpt_78_halfLds_sp_ip_CI_unitstride_sbrr_dirReg.kd
    .uniform_work_group_size: 1
    .uses_dynamic_stack: false
    .vgpr_count:     80
    .vgpr_spill_count: 0
    .wavefront_size: 32
    .workgroup_processor_mode: 1
amdhsa.target:   amdgcn-amd-amdhsa--gfx1201
amdhsa.version:
  - 1
  - 2
...

	.end_amdgpu_metadata
